;; amdgpu-corpus repo=ROCm/hip-tests kind=compiled arch=gfx1250 opt=O3
	.amdgcn_target "amdgcn-amd-amdhsa--gfx1250"
	.amdhsa_code_object_version 6
	.section	.text.unlikely.,"ax",@progbits
	.p2align	2                               ; -- Begin function __ockl_dm_alloc
	.type	__ockl_dm_alloc,@function
__ockl_dm_alloc:                        ; @__ockl_dm_alloc
; %bb.0:
	s_wait_loadcnt_dscnt 0x0
	s_wait_kmcnt 0x0
	v_dual_mov_b32 v3, v1 :: v_dual_mov_b32 v2, v0
	v_mov_b64_e32 v[0:1], 0
	s_mov_b32 s26, exec_lo
	s_delay_alu instid0(VALU_DEP_2)
	v_cmpx_ne_u64_e32 0, v[2:3]
	s_cbranch_execz .LBB0_661
; %bb.1:
	v_mbcnt_lo_u32_b32 v82, -1, 0
                                        ; implicit-def: $vgpr0_vgpr1
	s_mov_b32 s0, exec_lo
	v_cmpx_gt_u64_e32 0xc01, v[2:3]
	s_xor_b32 s27, exec_lo, s0
	s_cbranch_execz .LBB0_627
; %bb.2:
	v_max_u32_e32 v0, 16, v2
	s_load_b64 s[16:17], s[8:9], 0x60
	s_get_pc_i64 s[18:19]
	s_add_nc_u64 s[18:19], s[18:19], kinfo@rel64+4
	v_mov_b64_e32 v[34:35], 0
	v_mov_b64_e32 v[36:37], 0x100
	v_clz_i32_u32_e32 v1, v0
	v_mov_b64_e32 v[12:13], 0x100000003
	s_mov_b32 s13, 0
	s_get_pc_i64 s[20:21]
	s_add_nc_u64 s[20:21], s[20:21], kinfo@rel64+8
	v_dual_mov_b32 v4, 0 :: v_dual_bitop2_b32 v2, 31, v1 bitop3:0x14
	v_dual_mov_b32 v84, 0x100 :: v_dual_lshlrev_b32 v1, 1, v1
	s_delay_alu instid0(VALU_DEP_2) | instskip(NEXT) | instid1(VALU_DEP_3)
	v_dual_mov_b32 v16, 0x1800 :: v_dual_mov_b32 v9, v4
	v_lshlrev_b32_e64 v2, v2, 1
	v_dual_mov_b32 v7, v4 :: v_dual_mov_b32 v83, 1
	v_dual_mov_b32 v8, v4 :: v_dual_mov_b32 v85, 1
	s_delay_alu instid0(VALU_DEP_3) | instskip(SKIP_2) | instid1(VALU_DEP_1)
	v_lshrrev_b32_e32 v3, 1, v2
	v_cmp_gt_u32_e32 vcc_lo, v0, v2
	v_cndmask_b32_e64 v5, 0, 1, vcc_lo
	v_dual_sub_nc_u32 v1, v5, v1 :: v_dual_bitop2_b32 v2, v3, v2 bitop3:0x54
	s_delay_alu instid0(VALU_DEP_1) | instskip(NEXT) | instid1(VALU_DEP_2)
	v_cmp_gt_u32_e32 vcc_lo, v0, v2
	v_add_co_ci_u32_e64 v6, null, 54, v1, vcc_lo
	s_delay_alu instid0(VALU_DEP_1)
	v_lshlrev_b64_e32 v[0:1], 7, v[6:7]
	v_lshlrev_b64_e64 v[2:3], v6, 1
	v_mov_b32_e32 v3, v4
	v_mad_nc_u64_u32 v[48:49], v6, 28, s[18:19]
	v_cmp_ne_u32_e64 s0, 2, v6
	s_wait_kmcnt 0x0
	v_add_nc_u64_e32 v[30:31], s[16:17], v[0:1]
	v_and_b32_e32 v2, 0xbf, v2
	v_mov_b64_e32 v[0:1], 0
	s_delay_alu instid0(VALU_DEP_2) | instskip(NEXT) | instid1(VALU_DEP_4)
	v_cmp_ne_u64_e64 s1, 0, v[2:3]
	v_mad_nc_u64_u32 v[32:33], 0x1780, v6, v[30:31]
	s_delay_alu instid0(VALU_DEP_1) | instskip(SKIP_1) | instid1(VALU_DEP_2)
	v_mad_nc_u64_u32 v[38:39], 0xffffe880, v6, v[32:33]
	v_add_nc_u64_e32 v[50:51], 0x2800, v[32:33]
	v_dual_mov_b32 v20, 0x200000 :: v_dual_sub_nc_u32 v39, v39, v6
.LBB0_3:                                ; =>This Loop Header: Depth=1
                                        ;     Child Loop BB0_6 Depth 2
                                        ;       Child Loop BB0_11 Depth 3
                                        ;         Child Loop BB0_14 Depth 4
                                        ;         Child Loop BB0_37 Depth 4
                                        ;           Child Loop BB0_41 Depth 5
                                        ;           Child Loop BB0_62 Depth 5
                                        ;             Child Loop BB0_80 Depth 6
                                        ;             Child Loop BB0_88 Depth 6
	;; [unrolled: 1-line block ×29, first 2 shown]
                                        ;           Child Loop BB0_297 Depth 5
                                        ;           Child Loop BB0_300 Depth 5
	;; [unrolled: 1-line block ×7, first 2 shown]
                                        ;       Child Loop BB0_322 Depth 3
                                        ;         Child Loop BB0_326 Depth 4
                                        ;         Child Loop BB0_347 Depth 4
                                        ;           Child Loop BB0_365 Depth 5
                                        ;           Child Loop BB0_373 Depth 5
	;; [unrolled: 1-line block ×29, first 2 shown]
                                        ;         Child Loop BB0_582 Depth 4
                                        ;         Child Loop BB0_585 Depth 4
	;; [unrolled: 1-line block ×7, first 2 shown]
                                        ;       Child Loop BB0_607 Depth 3
	v_cmp_ne_u32_e32 vcc_lo, 0, v85
	v_mov_b32_e32 v85, v4
	s_and_saveexec_b32 s28, vcc_lo
	s_cbranch_execz .LBB0_625
; %bb.4:                                ;   in Loop: Header=BB0_3 Depth=1
	v_readfirstlane_b32 s2, v6
	v_mov_b32_e32 v85, 1
	s_mov_b32 s29, exec_lo
	v_cmpx_eq_u32_e64 s2, v6
	s_cbranch_execz .LBB0_624
; %bb.5:                                ;   in Loop: Header=BB0_3 Depth=1
	v_dual_mov_b32 v85, 1 :: v_dual_mov_b32 v5, 1
.LBB0_6:                                ;   Parent Loop BB0_3 Depth=1
                                        ; =>  This Loop Header: Depth=2
                                        ;       Child Loop BB0_11 Depth 3
                                        ;         Child Loop BB0_14 Depth 4
                                        ;         Child Loop BB0_37 Depth 4
                                        ;           Child Loop BB0_41 Depth 5
                                        ;           Child Loop BB0_62 Depth 5
                                        ;             Child Loop BB0_80 Depth 6
                                        ;             Child Loop BB0_88 Depth 6
	;; [unrolled: 1-line block ×29, first 2 shown]
                                        ;           Child Loop BB0_297 Depth 5
                                        ;           Child Loop BB0_300 Depth 5
	;; [unrolled: 1-line block ×7, first 2 shown]
                                        ;       Child Loop BB0_322 Depth 3
                                        ;         Child Loop BB0_326 Depth 4
                                        ;         Child Loop BB0_347 Depth 4
                                        ;           Child Loop BB0_365 Depth 5
                                        ;           Child Loop BB0_373 Depth 5
	;; [unrolled: 1-line block ×29, first 2 shown]
                                        ;         Child Loop BB0_582 Depth 4
                                        ;         Child Loop BB0_585 Depth 4
	;; [unrolled: 1-line block ×7, first 2 shown]
                                        ;       Child Loop BB0_607 Depth 3
	s_delay_alu instid0(VALU_DEP_1)
	v_cmp_ne_u32_e32 vcc_lo, 0, v5
	v_mov_b32_e32 v5, 0
	s_mov_b32 s2, 0
	s_and_saveexec_b32 s40, vcc_lo
	s_cbranch_execz .LBB0_623
; %bb.7:                                ;   in Loop: Header=BB0_6 Depth=2
	v_mbcnt_lo_u32_b32 v3, exec_lo, 0
	v_mov_b32_e32 v2, 0
	s_mov_b32 s2, exec_lo
	s_delay_alu instid0(VALU_DEP_2)
	v_cmpx_eq_u32_e32 0, v3
	s_cbranch_execz .LBB0_9
; %bb.8:                                ;   in Loop: Header=BB0_6 Depth=2
	global_load_b32 v2, v[30:31], off offset:2048 scope:SCOPE_DEV
.LBB0_9:                                ;   in Loop: Header=BB0_6 Depth=2
	s_wait_xcnt 0x0
	s_or_b32 exec_lo, exec_lo, s2
	s_wait_loadcnt 0x0
	v_readfirstlane_b32 s41, v2
	s_mov_b32 s2, -1
                                        ; implicit-def: $vgpr52_vgpr53
	s_cmp_gt_u32 s41, 0x100ff
	s_cbranch_scc0 .LBB0_320
; %bb.10:                               ;   in Loop: Header=BB0_6 Depth=2
	v_mbcnt_lo_u32_b32 v86, exec_lo, 0
	v_mov_b32_e32 v22, v6
	s_mov_b32 s42, 0
	s_bcnt1_i32_b32 s43, exec_lo
                                        ; implicit-def: $vgpr52_vgpr53
	s_delay_alu instid0(VALU_DEP_2)
	v_cmp_eq_u32_e64 s2, 0, v86
.LBB0_11:                               ;   Parent Loop BB0_3 Depth=1
                                        ;     Parent Loop BB0_6 Depth=2
                                        ; =>    This Loop Header: Depth=3
                                        ;         Child Loop BB0_14 Depth 4
                                        ;         Child Loop BB0_37 Depth 4
                                        ;           Child Loop BB0_41 Depth 5
                                        ;           Child Loop BB0_62 Depth 5
                                        ;             Child Loop BB0_80 Depth 6
                                        ;             Child Loop BB0_88 Depth 6
	;; [unrolled: 1-line block ×29, first 2 shown]
                                        ;           Child Loop BB0_297 Depth 5
                                        ;           Child Loop BB0_300 Depth 5
	;; [unrolled: 1-line block ×7, first 2 shown]
	v_dual_mov_b32 v23, v4 :: v_dual_mov_b32 v2, 0
	s_delay_alu instid0(VALU_DEP_2)
	s_and_saveexec_b32 s3, s2
	s_cbranch_execz .LBB0_13
; %bb.12:                               ;   in Loop: Header=BB0_11 Depth=3
	s_delay_alu instid0(VALU_DEP_1) | instskip(NEXT) | instid1(VALU_DEP_1)
	v_lshlrev_b64_e32 v[2:3], 7, v[22:23]
	v_add_nc_u64_e32 v[2:3], s[16:17], v[2:3]
	global_load_b32 v2, v[2:3], off scope:SCOPE_DEV
.LBB0_13:                               ;   in Loop: Header=BB0_11 Depth=3
	s_wait_xcnt 0x0
	s_or_b32 exec_lo, exec_lo, s3
	v_mad_nc_u64_u32 v[10:11], v22, 28, s[20:21]
	s_wait_loadcnt 0x0
	v_readfirstlane_b32 s3, v2
	v_mad_nc_u64_u32 v[2:3], 0x1800, v22, s[16:17]
	s_delay_alu instid0(VALU_DEP_2) | instskip(SKIP_4) | instid1(VALU_DEP_1)
	v_add_nc_u32_e32 v17, s3, v86
	s_mov_b32 s3, 0x10100
	global_load_b32 v5, v[10:11], off
	s_wait_xcnt 0x0
	v_mul_hi_u32 v10, 0xff00ff01, v17
	v_lshrrev_b32_e32 v14, 16, v10
	v_mad_nc_u64_u32 v[10:11], 0xffffe880, v22, v[2:3]
	s_delay_alu instid0(VALU_DEP_2) | instskip(SKIP_1) | instid1(VALU_DEP_2)
	v_mul_u32_u24_e32 v18, 0x10100, v14
	v_add_nc_u64_e32 v[14:15], 0x2800, v[2:3]
	v_sub_nc_u32_e32 v17, v17, v18
	s_delay_alu instid0(VALU_DEP_4)
	v_sub_nc_u32_e32 v11, v11, v22
.LBB0_14:                               ;   Parent Loop BB0_3 Depth=1
                                        ;     Parent Loop BB0_6 Depth=2
                                        ;       Parent Loop BB0_11 Depth=3
                                        ; =>      This Inner Loop Header: Depth=4
	s_delay_alu instid0(VALU_DEP_3) | instskip(NEXT) | instid1(VALU_DEP_3)
	v_mov_b64_e32 v[18:19], v[14:15]
	v_mov_b32_e32 v21, v17
	s_mov_b32 s4, exec_lo
	v_cmpx_lt_u32_e32 0xff, v17
	s_cbranch_execz .LBB0_16
; %bb.15:                               ;   in Loop: Header=BB0_14 Depth=4
	v_add_nc_u32_e32 v18, 0xffffff00, v17
	v_and_b32_e32 v21, 0xff, v17
	s_delay_alu instid0(VALU_DEP_2) | instskip(NEXT) | instid1(VALU_DEP_1)
	v_lshrrev_b32_e32 v18, 8, v18
	v_mad_nc_u64_u32 v[18:19], v18, 24, v[2:3]
	global_load_b64 v[18:19], v[18:19], off offset:10240 scope:SCOPE_DEV
.LBB0_16:                               ;   in Loop: Header=BB0_14 Depth=4
	s_wait_xcnt 0x0
	s_or_b32 exec_lo, exec_lo, s4
	s_wait_loadcnt 0x0
	v_mad_nc_u64_u32 v[18:19], v21, 24, v[18:19]
	global_load_b32 v18, v[18:19], off offset:16 scope:SCOPE_DEV
	s_wait_loadcnt 0x0
	v_cmp_lt_u32_e32 vcc_lo, v18, v5
	s_cbranch_vccz .LBB0_18
; %bb.17:                               ;   in Loop: Header=BB0_14 Depth=4
	s_ctz_i32_b32 s4, vcc_lo
	s_delay_alu instid0(SALU_CYCLE_1)
	s_lshl_b32 s4, s4, 2
	s_wait_xcnt 0x0
	v_mov_b32_e32 v18, s4
	ds_bpermute_b32 v18, v18, v17
	s_branch .LBB0_19
.LBB0_18:                               ;   in Loop: Header=BB0_14 Depth=4
	s_wait_xcnt 0x0
	v_mov_b32_e32 v18, -1
.LBB0_19:                               ;   in Loop: Header=BB0_14 Depth=4
	s_wait_dscnt 0x0
	s_delay_alu instid0(VALU_DEP_1) | instskip(SKIP_3) | instid1(SALU_CYCLE_1)
	v_readfirstlane_b32 s5, v18
	s_mov_b32 s6, -1
                                        ; implicit-def: $vgpr18_vgpr19
	s_cmp_eq_u32 s5, -1
	s_cselect_b32 s4, -1, 0
	s_and_b32 vcc_lo, exec_lo, s4
	s_cbranch_vccnz .LBB0_23
; %bb.20:                               ;   in Loop: Header=BB0_14 Depth=4
	v_mov_b64_e32 v[18:19], v[14:15]
	s_cmp_lt_u32 s5, 0x100
	s_cbranch_scc1 .LBB0_22
; %bb.21:                               ;   in Loop: Header=BB0_14 Depth=4
	s_add_co_i32 s6, s5, 0xffffff00
	s_and_b32 s5, s5, 0xff
	s_lshr_b32 s6, s6, 8
	s_delay_alu instid0(SALU_CYCLE_1)
	v_mad_nc_u64_u32 v[18:19], s6, 24, v[2:3]
	global_load_b64 v[18:19], v[18:19], off offset:10240 scope:SCOPE_DEV
.LBB0_22:                               ;   in Loop: Header=BB0_14 Depth=4
	s_wait_loadcnt 0x0
	s_wait_xcnt 0x0
	s_delay_alu instid0(VALU_DEP_1)
	v_mad_nc_u64_u32 v[18:19], s5, 24, v[18:19]
	s_mov_b32 s6, 0
.LBB0_23:                               ;   in Loop: Header=BB0_14 Depth=4
	s_delay_alu instid0(SALU_CYCLE_1)
	s_and_b32 vcc_lo, exec_lo, s6
	s_cbranch_vccz .LBB0_27
; %bb.24:                               ;   in Loop: Header=BB0_14 Depth=4
	v_add_nc_u32_e32 v17, s43, v17
	s_delay_alu instid0(VALU_DEP_1) | instskip(NEXT) | instid1(VALU_DEP_1)
	v_mul_hi_u32 v18, 0xff00ff01, v17
	v_lshrrev_b32_e32 v18, 16, v18
	s_delay_alu instid0(VALU_DEP_1) | instskip(NEXT) | instid1(VALU_DEP_1)
	v_mul_u32_u24_e32 v18, 0x10100, v18
	v_sub_nc_u32_e32 v17, v17, v18
	s_and_saveexec_b32 s5, s2
	s_cbranch_execz .LBB0_26
; %bb.25:                               ;   in Loop: Header=BB0_14 Depth=4
	global_store_b32 v[10:11], v17, off scope:SCOPE_DEV
.LBB0_26:                               ;   in Loop: Header=BB0_14 Depth=4
	s_wait_xcnt 0x0
	s_or_b32 exec_lo, exec_lo, s5
	s_sub_co_i32 s3, s3, s43
	s_branch .LBB0_28
.LBB0_27:                               ;   in Loop: Header=BB0_14 Depth=4
	s_delay_alu instid0(VALU_DEP_1)
	v_mov_b64_e32 v[52:53], v[18:19]
.LBB0_28:                               ;   in Loop: Header=BB0_14 Depth=4
	s_mov_b32 s5, -1
	s_and_not1_b32 vcc_lo, exec_lo, s4
	s_mov_b32 s4, -1
	s_cbranch_vccnz .LBB0_30
; %bb.29:                               ;   in Loop: Header=BB0_14 Depth=4
	s_cmp_lt_i32 s3, 1
	s_mov_b32 s5, 0
	s_cselect_b32 s4, -1, 0
.LBB0_30:                               ;   in Loop: Header=BB0_14 Depth=4
	s_delay_alu instid0(SALU_CYCLE_1)
	s_and_not1_b32 vcc_lo, exec_lo, s4
	s_cbranch_vccnz .LBB0_14
; %bb.31:                               ;   in Loop: Header=BB0_11 Depth=3
	s_and_not1_b32 vcc_lo, exec_lo, s5
	s_mov_b32 s3, 0
	s_cbranch_vccz .LBB0_318
; %bb.32:                               ;   in Loop: Header=BB0_11 Depth=3
	v_cmp_eq_u32_e32 vcc_lo, v22, v6
	v_cmp_gt_u32_e64 s3, 14, v22
	v_mov_b64_e32 v[2:3], 0
	s_and_b32 s4, vcc_lo, s3
	s_mov_b32 s3, 0
	s_and_saveexec_b32 s44, s4
	s_cbranch_execz .LBB0_317
; %bb.33:                               ;   in Loop: Header=BB0_11 Depth=3
	v_dual_mov_b32 v3, 0 :: v_dual_bitop2_b32 v2, -2, v22 bitop3:0x40
	s_and_saveexec_b32 s3, s2
	s_cbranch_execz .LBB0_35
; %bb.34:                               ;   in Loop: Header=BB0_11 Depth=3
	v_mov_b32_e32 v3, v4
	s_delay_alu instid0(VALU_DEP_1) | instskip(NEXT) | instid1(VALU_DEP_1)
	v_lshlrev_b64_e32 v[10:11], 7, v[2:3]
	v_add_nc_u64_e32 v[10:11], s[16:17], v[10:11]
	global_load_b32 v3, v[10:11], off offset:2304 scope:SCOPE_DEV
.LBB0_35:                               ;   in Loop: Header=BB0_11 Depth=3
	s_wait_xcnt 0x0
	s_or_b32 exec_lo, exec_lo, s3
	s_wait_loadcnt 0x0
	v_readfirstlane_b32 s45, v3
	v_add_nc_u32_e32 v22, 2, v2
	s_mov_b32 s3, -1
	s_cmp_gt_u32 s45, 0x100ff
	s_cbranch_scc1 .LBB0_316
; %bb.36:                               ;   in Loop: Header=BB0_11 Depth=3
	v_mov_b32_e32 v3, v4
	v_lshlrev_b64_e64 v[10:11], v22, 1
	v_mad_nc_u64_u32 v[54:55], 0x1800, v2, s[16:17]
	v_mov_b32_e32 v11, v4
	v_mad_nc_u64_u32 v[64:65], v2, 28, s[18:19]
	v_lshlrev_b64_e32 v[14:15], 7, v[2:3]
	v_mbcnt_lo_u32_b32 v87, exec_lo, 0
	v_dual_mov_b32 v23, v4 :: v_dual_bitop2_b32 v10, 20, v10 bitop3:0x40
	v_cmp_ne_u32_e64 s3, 0, v2
	v_dual_mov_b32 v24, v4 :: v_dual_mov_b32 v25, v4
	v_add_nc_u64_e32 v[68:69], s[16:17], v[14:15]
	v_add_nc_u64_e32 v[66:67], 0x5800, v[54:55]
	v_cmp_ne_u64_e64 s5, 0, v[10:11]
	v_cmp_eq_u32_e64 s4, 0, v87
	s_bcnt1_i32_b32 s46, exec_lo
                                        ; implicit-def: $vgpr52_vgpr53
.LBB0_37:                               ;   Parent Loop BB0_3 Depth=1
                                        ;     Parent Loop BB0_6 Depth=2
                                        ;       Parent Loop BB0_11 Depth=3
                                        ; =>      This Loop Header: Depth=4
                                        ;           Child Loop BB0_41 Depth 5
                                        ;           Child Loop BB0_62 Depth 5
                                        ;             Child Loop BB0_80 Depth 6
                                        ;             Child Loop BB0_88 Depth 6
	;; [unrolled: 1-line block ×29, first 2 shown]
                                        ;           Child Loop BB0_297 Depth 5
                                        ;           Child Loop BB0_300 Depth 5
	;; [unrolled: 1-line block ×7, first 2 shown]
	s_delay_alu instid0(VALU_DEP_1)
	s_cmp_eq_u32 s45, 0
	s_mov_b32 s14, -1
	s_cbranch_scc1 .LBB0_59
; %bb.38:                               ;   in Loop: Header=BB0_37 Depth=4
	v_mov_b32_e32 v2, 0
	s_and_saveexec_b32 s6, s4
	s_cbranch_execz .LBB0_40
; %bb.39:                               ;   in Loop: Header=BB0_37 Depth=4
	global_load_b32 v2, v[68:69], off offset:256 scope:SCOPE_DEV
.LBB0_40:                               ;   in Loop: Header=BB0_37 Depth=4
	s_wait_xcnt 0x0
	s_or_b32 exec_lo, exec_lo, s6
	global_load_b32 v5, v[64:65], off offset:64
	s_cvt_f32_u32 s6, s45
	s_wait_loadcnt 0x1
	v_readfirstlane_b32 s7, v2
	s_sub_co_i32 s10, 0, s45
	v_rcp_iflag_f32_e32 v3, s6
	v_add_nc_u32_e32 v2, s7, v87
	s_delay_alu instid0(TRANS32_DEP_1) | instskip(SKIP_1) | instid1(SALU_CYCLE_3)
	v_readfirstlane_b32 s6, v3
	s_mul_f32 s6, s6, 0x4f7ffffe
	s_cvt_u32_f32 s6, s6
	s_delay_alu instid0(SALU_CYCLE_3) | instskip(NEXT) | instid1(SALU_CYCLE_1)
	s_mul_i32 s10, s10, s6
	s_mul_hi_u32 s7, s6, s10
	s_delay_alu instid0(SALU_CYCLE_1) | instskip(SKIP_2) | instid1(VALU_DEP_1)
	s_add_co_i32 s12, s6, s7
	s_mov_b32 s6, s45
	v_mul_hi_u32 v3, v2, s12
	v_mul_lo_u32 v3, v3, s45
	s_delay_alu instid0(VALU_DEP_1) | instskip(NEXT) | instid1(VALU_DEP_1)
	v_sub_nc_u32_e32 v2, v2, v3
	v_subrev_nc_u32_e32 v3, s45, v2
	v_cmp_le_u32_e32 vcc_lo, s45, v2
	s_delay_alu instid0(VALU_DEP_2) | instskip(NEXT) | instid1(VALU_DEP_1)
	v_cndmask_b32_e32 v2, v2, v3, vcc_lo
	v_subrev_nc_u32_e32 v3, s45, v2
	v_cmp_le_u32_e32 vcc_lo, s45, v2
	s_delay_alu instid0(VALU_DEP_2)
	v_cndmask_b32_e32 v10, v2, v3, vcc_lo
.LBB0_41:                               ;   Parent Loop BB0_3 Depth=1
                                        ;     Parent Loop BB0_6 Depth=2
                                        ;       Parent Loop BB0_11 Depth=3
                                        ;         Parent Loop BB0_37 Depth=4
                                        ; =>        This Inner Loop Header: Depth=5
	v_mov_b64_e32 v[2:3], v[66:67]
	s_delay_alu instid0(VALU_DEP_2)
	v_mov_b32_e32 v11, v10
	s_mov_b32 s7, exec_lo
	s_wait_xcnt 0x0
	v_cmpx_lt_u32_e32 0xff, v10
	s_cbranch_execz .LBB0_43
; %bb.42:                               ;   in Loop: Header=BB0_41 Depth=5
	v_add_nc_u32_e32 v2, 0xffffff00, v10
	v_and_b32_e32 v11, 0xff, v10
	s_delay_alu instid0(VALU_DEP_2) | instskip(NEXT) | instid1(VALU_DEP_1)
	v_lshrrev_b32_e32 v2, 8, v2
	v_mad_nc_u64_u32 v[2:3], v2, 24, v[54:55]
	global_load_b64 v[2:3], v[2:3], off offset:22528 scope:SCOPE_DEV
.LBB0_43:                               ;   in Loop: Header=BB0_41 Depth=5
	s_wait_xcnt 0x0
	s_or_b32 exec_lo, exec_lo, s7
	s_wait_loadcnt 0x0
	v_mad_nc_u64_u32 v[2:3], v11, 24, v[2:3]
	global_load_b32 v2, v[2:3], off offset:16 scope:SCOPE_DEV
	s_wait_loadcnt 0x0
	v_cmp_lt_u32_e32 vcc_lo, v2, v5
	s_cbranch_vccz .LBB0_45
; %bb.44:                               ;   in Loop: Header=BB0_41 Depth=5
	s_ctz_i32_b32 s7, vcc_lo
	s_delay_alu instid0(SALU_CYCLE_1)
	s_lshl_b32 s7, s7, 2
	s_wait_xcnt 0x0
	v_mov_b32_e32 v2, s7
	ds_bpermute_b32 v2, v2, v10
	s_branch .LBB0_46
.LBB0_45:                               ;   in Loop: Header=BB0_41 Depth=5
	s_wait_xcnt 0x0
	v_mov_b32_e32 v2, -1
.LBB0_46:                               ;   in Loop: Header=BB0_41 Depth=5
	s_wait_dscnt 0x0
	s_delay_alu instid0(VALU_DEP_1) | instskip(SKIP_3) | instid1(SALU_CYCLE_1)
	v_readfirstlane_b32 s10, v2
	s_mov_b32 s11, -1
                                        ; implicit-def: $vgpr2_vgpr3
	s_cmp_eq_u32 s10, -1
	s_cselect_b32 s7, -1, 0
	s_and_b32 vcc_lo, exec_lo, s7
	s_cbranch_vccnz .LBB0_50
; %bb.47:                               ;   in Loop: Header=BB0_41 Depth=5
	v_mov_b64_e32 v[2:3], v[66:67]
	s_cmp_lt_u32 s10, 0x100
	s_cbranch_scc1 .LBB0_49
; %bb.48:                               ;   in Loop: Header=BB0_41 Depth=5
	s_add_co_i32 s11, s10, 0xffffff00
	s_and_b32 s10, s10, 0xff
	s_lshr_b32 s11, s11, 8
	s_delay_alu instid0(SALU_CYCLE_1)
	v_mad_nc_u64_u32 v[2:3], s11, 24, v[54:55]
	global_load_b64 v[2:3], v[2:3], off offset:22528 scope:SCOPE_DEV
.LBB0_49:                               ;   in Loop: Header=BB0_41 Depth=5
	s_wait_loadcnt 0x0
	s_wait_xcnt 0x0
	s_delay_alu instid0(VALU_DEP_1)
	v_mad_nc_u64_u32 v[2:3], s10, 24, v[2:3]
	s_mov_b32 s11, 0
.LBB0_50:                               ;   in Loop: Header=BB0_41 Depth=5
	s_delay_alu instid0(SALU_CYCLE_1)
	s_and_b32 vcc_lo, exec_lo, s11
	s_cbranch_vccz .LBB0_54
; %bb.51:                               ;   in Loop: Header=BB0_41 Depth=5
	v_dual_mov_b32 v3, v4 :: v_dual_add_nc_u32 v2, s46, v10
	s_delay_alu instid0(VALU_DEP_1) | instskip(NEXT) | instid1(VALU_DEP_1)
	v_mul_u64_e32 v[10:11], s[12:13], v[2:3]
	v_mul_lo_u32 v3, v11, s45
	s_delay_alu instid0(VALU_DEP_1) | instskip(NEXT) | instid1(VALU_DEP_1)
	v_sub_nc_u32_e32 v2, v2, v3
	v_subrev_nc_u32_e32 v3, s45, v2
	v_cmp_le_u32_e32 vcc_lo, s45, v2
	s_delay_alu instid0(VALU_DEP_2) | instskip(NEXT) | instid1(VALU_DEP_1)
	v_cndmask_b32_e32 v2, v2, v3, vcc_lo
	v_subrev_nc_u32_e32 v3, s45, v2
	v_cmp_le_u32_e32 vcc_lo, s45, v2
	s_delay_alu instid0(VALU_DEP_2)
	v_cndmask_b32_e32 v10, v2, v3, vcc_lo
	s_and_saveexec_b32 s10, s4
	s_cbranch_execz .LBB0_53
; %bb.52:                               ;   in Loop: Header=BB0_41 Depth=5
	global_store_b32 v[68:69], v10, off offset:256 scope:SCOPE_DEV
.LBB0_53:                               ;   in Loop: Header=BB0_41 Depth=5
	s_wait_xcnt 0x0
	s_or_b32 exec_lo, exec_lo, s10
	s_sub_co_i32 s6, s6, s46
	s_branch .LBB0_55
.LBB0_54:                               ;   in Loop: Header=BB0_41 Depth=5
	s_delay_alu instid0(VALU_DEP_1)
	v_mov_b64_e32 v[52:53], v[2:3]
.LBB0_55:                               ;   in Loop: Header=BB0_41 Depth=5
	s_mov_b32 s10, -1
	s_and_not1_b32 vcc_lo, exec_lo, s7
	s_mov_b32 s7, -1
	s_cbranch_vccnz .LBB0_57
; %bb.56:                               ;   in Loop: Header=BB0_41 Depth=5
	s_cmp_lt_i32 s6, 1
	s_mov_b32 s10, 0
	s_cselect_b32 s7, -1, 0
.LBB0_57:                               ;   in Loop: Header=BB0_41 Depth=5
	s_delay_alu instid0(SALU_CYCLE_1)
	s_and_not1_b32 vcc_lo, exec_lo, s7
	s_cbranch_vccnz .LBB0_41
; %bb.58:                               ;   in Loop: Header=BB0_37 Depth=4
	s_xor_b32 s6, s10, -1
	s_branch .LBB0_60
.LBB0_59:                               ;   in Loop: Header=BB0_37 Depth=4
	s_mov_b32 s6, -1
.LBB0_60:                               ;   in Loop: Header=BB0_37 Depth=4
	s_delay_alu instid0(SALU_CYCLE_1)
	s_and_b32 vcc_lo, exec_lo, s6
	s_cbranch_vccz .LBB0_293
; %bb.61:                               ;   in Loop: Header=BB0_37 Depth=4
	v_mbcnt_lo_u32_b32 v2, exec_lo, 0
                                        ; implicit-def: $vgpr70_vgpr71
	s_delay_alu instid0(VALU_DEP_1)
	v_cmp_eq_u32_e64 s6, 0, v2
.LBB0_62:                               ;   Parent Loop BB0_3 Depth=1
                                        ;     Parent Loop BB0_6 Depth=2
                                        ;       Parent Loop BB0_11 Depth=3
                                        ;         Parent Loop BB0_37 Depth=4
                                        ; =>        This Loop Header: Depth=5
                                        ;             Child Loop BB0_80 Depth 6
                                        ;             Child Loop BB0_88 Depth 6
	;; [unrolled: 1-line block ×29, first 2 shown]
	v_mov_b32_e32 v2, 0
	s_delay_alu instid0(VALU_DEP_2)
	s_and_saveexec_b32 s7, s6
	s_cbranch_execz .LBB0_64
; %bb.63:                               ;   in Loop: Header=BB0_62 Depth=5
	global_load_b32 v2, v[68:69], off offset:2304 scope:SCOPE_DEV
.LBB0_64:                               ;   in Loop: Header=BB0_62 Depth=5
	s_wait_xcnt 0x0
	s_or_b32 exec_lo, exec_lo, s7
	s_wait_loadcnt 0x0
	v_readfirstlane_b32 s47, v2
	s_cmp_eq_u32 s47, 0x10100
	s_cbranch_scc1 .LBB0_174
; %bb.65:                               ;   in Loop: Header=BB0_62 Depth=5
	v_mov_b32_e32 v2, 0
	s_and_saveexec_b32 s7, s6
	s_cbranch_execz .LBB0_67
; %bb.66:                               ;   in Loop: Header=BB0_62 Depth=5
	global_atomic_cmpswap_b32 v2, v[68:69], v[36:37], off offset:4352 th:TH_ATOMIC_RETURN scope:SCOPE_DEV
	s_wait_loadcnt 0x0
	v_cmp_ne_u32_e32 vcc_lo, 0, v2
	v_cndmask_b32_e32 v2, 0x100, v2, vcc_lo
.LBB0_67:                               ;   in Loop: Header=BB0_62 Depth=5
	s_wait_xcnt 0x0
	s_or_b32 exec_lo, exec_lo, s7
	s_delay_alu instid0(VALU_DEP_1)
	v_readfirstlane_b32 s56, v2
	s_cmp_lg_u32 s47, s56
	s_cbranch_scc1 .LBB0_175
; %bb.68:                               ;   in Loop: Header=BB0_62 Depth=5
	v_mbcnt_lo_u32_b32 v3, exec_lo, 0
	v_mov_b32_e32 v2, 0
	s_delay_alu instid0(VALU_DEP_2)
	v_cmp_eq_u32_e64 s7, 0, v3
	s_and_saveexec_b32 s10, s7
	s_cbranch_execz .LBB0_70
; %bb.69:                               ;   in Loop: Header=BB0_62 Depth=5
	global_load_b32 v2, v[68:69], off offset:4352 scope:SCOPE_DEV
.LBB0_70:                               ;   in Loop: Header=BB0_62 Depth=5
	s_wait_xcnt 0x0
	s_or_b32 exec_lo, exec_lo, s10
	s_wait_loadcnt 0x0
	v_readfirstlane_b32 s58, v2
	s_mov_b32 s22, 2
	s_cmp_eq_u32 s58, 0x10100
	s_cbranch_scc1 .LBB0_155
; %bb.71:                               ;   in Loop: Header=BB0_62 Depth=5
	v_mov_b32_e32 v2, 1
	s_and_saveexec_b32 s12, s7
	s_cbranch_execz .LBB0_75
; %bb.72:                               ;   in Loop: Header=BB0_62 Depth=5
	global_load_b64 v[28:29], v[68:69], off offset:8448 scope:SCOPE_DEV
	s_sendmsg_rtn_b64 s[10:11], sendmsg(MSG_RTN_GET_REALTIME)
	s_wait_loadcnt 0x0
	s_wait_kmcnt 0x0
	v_sub_nc_u64_e32 v[2:3], s[10:11], v[28:29]
	s_delay_alu instid0(VALU_DEP_1)
	v_cmp_lt_u64_e32 vcc_lo, 0x752f, v[2:3]
	v_mov_b32_e32 v2, 1
	s_wait_xcnt 0x0
	s_and_saveexec_b32 s14, vcc_lo
	s_cbranch_execz .LBB0_74
; %bb.73:                               ;   in Loop: Header=BB0_62 Depth=5
	v_dual_mov_b32 v26, s10 :: v_dual_mov_b32 v27, s11
	global_atomic_cmpswap_b64 v[2:3], v[68:69], v[26:29], off offset:8448 th:TH_ATOMIC_RETURN scope:SCOPE_DEV
	s_wait_loadcnt 0x0
	v_cmp_eq_u64_e32 vcc_lo, v[2:3], v[28:29]
	v_cndmask_b32_e64 v2, 1, 2, vcc_lo
.LBB0_74:                               ;   in Loop: Header=BB0_62 Depth=5
	s_wait_xcnt 0x0
	s_or_b32 exec_lo, exec_lo, s14
.LBB0_75:                               ;   in Loop: Header=BB0_62 Depth=5
	s_delay_alu instid0(SALU_CYCLE_1) | instskip(NEXT) | instid1(VALU_DEP_1)
	s_or_b32 exec_lo, exec_lo, s12
	v_readfirstlane_b32 s57, v2
	s_mov_b32 s22, 1
	s_cmp_eq_u32 s57, 1
	s_cbranch_scc1 .LBB0_155
; %bb.76:                               ;   in Loop: Header=BB0_62 Depth=5
	v_mov_b32_e32 v3, 0
	s_delay_alu instid0(VALU_DEP_1)
	v_mov_b32_e32 v2, v3
	s_and_saveexec_b32 s59, s7
	s_cbranch_execz .LBB0_105
; %bb.77:                               ;   in Loop: Header=BB0_62 Depth=5
	s_load_b64 s[22:23], s[8:9], 0x50
	v_readfirstlane_b32 s10, v82
	v_mov_b64_e32 v[2:3], 0
	s_delay_alu instid0(VALU_DEP_2)
	v_cmp_eq_u32_e64 s10, s10, v82
	s_and_saveexec_b32 s11, s10
	s_cbranch_execz .LBB0_83
; %bb.78:                               ;   in Loop: Header=BB0_62 Depth=5
	s_wait_kmcnt 0x0
	global_load_b64 v[28:29], v4, s[22:23] offset:24 scope:SCOPE_SYS
	s_wait_loadcnt 0x0
	global_inv scope:SCOPE_SYS
	s_clause 0x1
	global_load_b64 v[2:3], v4, s[22:23] offset:40
	global_load_b64 v[10:11], v4, s[22:23]
	s_mov_b32 s12, exec_lo
	s_wait_loadcnt 0x1
	v_and_b32_e32 v2, v2, v28
	v_and_b32_e32 v3, v3, v29
	s_delay_alu instid0(VALU_DEP_1) | instskip(SKIP_1) | instid1(VALU_DEP_1)
	v_mul_u64_e32 v[2:3], 24, v[2:3]
	s_wait_loadcnt 0x0
	v_add_nc_u64_e32 v[2:3], v[10:11], v[2:3]
	global_load_b64 v[26:27], v[2:3], off scope:SCOPE_SYS
	s_wait_xcnt 0x0
	s_wait_loadcnt 0x0
	global_atomic_cmpswap_b64 v[2:3], v4, v[26:29], s[22:23] offset:24 th:TH_ATOMIC_RETURN scope:SCOPE_SYS
	s_wait_loadcnt 0x0
	global_inv scope:SCOPE_SYS
	s_wait_xcnt 0x0
	v_cmpx_ne_u64_e64 v[2:3], v[28:29]
	s_cbranch_execz .LBB0_82
; %bb.79:                               ;   in Loop: Header=BB0_62 Depth=5
	s_mov_b32 s14, 0
.LBB0_80:                               ;   Parent Loop BB0_3 Depth=1
                                        ;     Parent Loop BB0_6 Depth=2
                                        ;       Parent Loop BB0_11 Depth=3
                                        ;         Parent Loop BB0_37 Depth=4
                                        ;           Parent Loop BB0_62 Depth=5
                                        ; =>          This Inner Loop Header: Depth=6
	s_sleep 1
	s_clause 0x1
	global_load_b64 v[10:11], v4, s[22:23] offset:40
	global_load_b64 v[14:15], v4, s[22:23]
	v_mov_b64_e32 v[28:29], v[2:3]
	s_wait_loadcnt 0x1
	s_delay_alu instid0(VALU_DEP_1) | instskip(NEXT) | instid1(VALU_DEP_2)
	v_and_b32_e32 v2, v10, v28
	v_and_b32_e32 v5, v11, v29
	s_wait_loadcnt 0x0
	s_delay_alu instid0(VALU_DEP_2) | instskip(NEXT) | instid1(VALU_DEP_1)
	v_mad_nc_u64_u32 v[2:3], v2, 24, v[14:15]
	v_mad_u32 v3, v5, 24, v3
	global_load_b64 v[26:27], v[2:3], off scope:SCOPE_SYS
	s_wait_xcnt 0x0
	s_wait_loadcnt 0x0
	global_atomic_cmpswap_b64 v[2:3], v4, v[26:29], s[22:23] offset:24 th:TH_ATOMIC_RETURN scope:SCOPE_SYS
	s_wait_loadcnt 0x0
	global_inv scope:SCOPE_SYS
	v_cmp_eq_u64_e32 vcc_lo, v[2:3], v[28:29]
	s_or_b32 s14, vcc_lo, s14
	s_wait_xcnt 0x0
	s_and_not1_b32 exec_lo, exec_lo, s14
	s_cbranch_execnz .LBB0_80
; %bb.81:                               ;   in Loop: Header=BB0_62 Depth=5
	s_or_b32 exec_lo, exec_lo, s14
.LBB0_82:                               ;   in Loop: Header=BB0_62 Depth=5
	s_delay_alu instid0(SALU_CYCLE_1)
	s_or_b32 exec_lo, exec_lo, s12
.LBB0_83:                               ;   in Loop: Header=BB0_62 Depth=5
	s_delay_alu instid0(SALU_CYCLE_1)
	s_or_b32 exec_lo, exec_lo, s11
	s_wait_kmcnt 0x0
	s_clause 0x1
	global_load_b64 v[10:11], v4, s[22:23] offset:40
	global_load_b128 v[26:29], v4, s[22:23]
	v_readfirstlane_b32 s24, v2
	v_readfirstlane_b32 s25, v3
	s_mov_b32 s11, exec_lo
	s_wait_loadcnt 0x1
	v_and_b32_e32 v14, s24, v10
	v_and_b32_e32 v15, s25, v11
	s_delay_alu instid0(VALU_DEP_1) | instskip(SKIP_1) | instid1(VALU_DEP_1)
	v_mul_u64_e32 v[2:3], 24, v[14:15]
	s_wait_loadcnt 0x0
	v_add_nc_u64_e32 v[2:3], v[26:27], v[2:3]
	s_wait_xcnt 0x0
	s_and_saveexec_b32 s12, s10
	s_cbranch_execz .LBB0_85
; %bb.84:                               ;   in Loop: Header=BB0_62 Depth=5
	v_dual_mov_b32 v10, s11 :: v_dual_mov_b32 v11, v4
	global_store_b128 v[2:3], v[10:13], off offset:8
.LBB0_85:                               ;   in Loop: Header=BB0_62 Depth=5
	s_wait_xcnt 0x0
	s_or_b32 exec_lo, exec_lo, s12
	v_lshlrev_b64_e32 v[14:15], 12, v[14:15]
	s_mov_b32 s14, s13
	s_mov_b32 s15, s13
	;; [unrolled: 1-line block ×3, first 2 shown]
	v_mov_b64_e32 v[98:99], s[14:15]
	v_mov_b64_e32 v[96:97], s[12:13]
	v_lshlrev_b32_e32 v10, 6, v82
	v_add_nc_u64_e32 v[18:19], v[28:29], v[14:15]
	v_dual_mov_b32 v14, v4 :: v_dual_mov_b32 v15, v4
	v_mov_b32_e32 v17, v4
	s_delay_alu instid0(VALU_DEP_3) | instskip(NEXT) | instid1(VALU_DEP_4)
	v_readfirstlane_b32 s60, v18
	v_readfirstlane_b32 s61, v19
	s_clause 0x3
	global_store_b128 v10, v[14:17], s[60:61]
	global_store_b128 v10, v[96:99], s[60:61] offset:16
	global_store_b128 v10, v[96:99], s[60:61] offset:32
	;; [unrolled: 1-line block ×3, first 2 shown]
	s_wait_xcnt 0x0
	s_and_saveexec_b32 s11, s10
	s_cbranch_execz .LBB0_93
; %bb.86:                               ;   in Loop: Header=BB0_62 Depth=5
	s_clause 0x1
	global_load_b64 v[98:99], v4, s[22:23] offset:32 scope:SCOPE_SYS
	global_load_b64 v[14:15], v4, s[22:23] offset:40
	s_mov_b32 s12, exec_lo
	v_dual_mov_b32 v96, s24 :: v_dual_mov_b32 v97, s25
	s_wait_loadcnt 0x0
	v_and_b32_e32 v15, s25, v15
	v_and_b32_e32 v14, s24, v14
	s_delay_alu instid0(VALU_DEP_1) | instskip(NEXT) | instid1(VALU_DEP_1)
	v_mul_u64_e32 v[14:15], 24, v[14:15]
	v_add_nc_u64_e32 v[14:15], v[26:27], v[14:15]
	global_store_b64 v[14:15], v[98:99], off
	global_wb scope:SCOPE_SYS
	s_wait_storecnt 0x0
	s_wait_xcnt 0x0
	global_atomic_cmpswap_b64 v[28:29], v4, v[96:99], s[22:23] offset:32 th:TH_ATOMIC_RETURN scope:SCOPE_SYS
	s_wait_loadcnt 0x0
	v_cmpx_ne_u64_e64 v[28:29], v[98:99]
	s_cbranch_execz .LBB0_89
; %bb.87:                               ;   in Loop: Header=BB0_62 Depth=5
	s_mov_b32 s14, 0
.LBB0_88:                               ;   Parent Loop BB0_3 Depth=1
                                        ;     Parent Loop BB0_6 Depth=2
                                        ;       Parent Loop BB0_11 Depth=3
                                        ;         Parent Loop BB0_37 Depth=4
                                        ;           Parent Loop BB0_62 Depth=5
                                        ; =>          This Inner Loop Header: Depth=6
	v_dual_mov_b32 v26, s24 :: v_dual_mov_b32 v27, s25
	s_sleep 1
	global_store_b64 v[14:15], v[28:29], off
	global_wb scope:SCOPE_SYS
	s_wait_storecnt 0x0
	s_wait_xcnt 0x0
	global_atomic_cmpswap_b64 v[26:27], v4, v[26:29], s[22:23] offset:32 th:TH_ATOMIC_RETURN scope:SCOPE_SYS
	s_wait_loadcnt 0x0
	v_cmp_eq_u64_e32 vcc_lo, v[26:27], v[28:29]
	v_mov_b64_e32 v[28:29], v[26:27]
	s_or_b32 s14, vcc_lo, s14
	s_delay_alu instid0(SALU_CYCLE_1)
	s_and_not1_b32 exec_lo, exec_lo, s14
	s_cbranch_execnz .LBB0_88
.LBB0_89:                               ;   in Loop: Header=BB0_62 Depth=5
	s_or_b32 exec_lo, exec_lo, s12
	global_load_b64 v[14:15], v4, s[22:23] offset:16
	s_mov_b32 s14, exec_lo
	s_mov_b32 s12, exec_lo
	v_mbcnt_lo_u32_b32 v5, s14, 0
	s_wait_xcnt 0x0
	s_delay_alu instid0(VALU_DEP_1)
	v_cmpx_eq_u32_e32 0, v5
	s_cbranch_execz .LBB0_91
; %bb.90:                               ;   in Loop: Header=BB0_62 Depth=5
	s_bcnt1_i32_b32 s14, s14
	s_delay_alu instid0(SALU_CYCLE_1)
	v_dual_mov_b32 v27, v4 :: v_dual_mov_b32 v26, s14
	global_wb scope:SCOPE_SYS
	s_wait_loadcnt 0x0
	s_wait_storecnt 0x0
	global_atomic_add_u64 v[14:15], v[26:27], off offset:8 scope:SCOPE_SYS
.LBB0_91:                               ;   in Loop: Header=BB0_62 Depth=5
	s_wait_xcnt 0x0
	s_or_b32 exec_lo, exec_lo, s12
	s_wait_loadcnt 0x0
	global_load_b64 v[26:27], v[14:15], off offset:16
	s_wait_loadcnt 0x0
	v_cmp_eq_u64_e32 vcc_lo, 0, v[26:27]
	s_cbranch_vccnz .LBB0_93
; %bb.92:                               ;   in Loop: Header=BB0_62 Depth=5
	global_load_b32 v14, v[14:15], off offset:24
	s_wait_xcnt 0x0
	v_mov_b32_e32 v15, v4
	s_wait_loadcnt 0x0
	v_readfirstlane_b32 s12, v14
	global_wb scope:SCOPE_SYS
	s_wait_storecnt 0x0
	global_store_b64 v[26:27], v[14:15], off scope:SCOPE_SYS
	s_and_b32 m0, s12, 0xffffff
	s_sendmsg sendmsg(MSG_INTERRUPT)
.LBB0_93:                               ;   in Loop: Header=BB0_62 Depth=5
	s_wait_xcnt 0x0
	s_or_b32 exec_lo, exec_lo, s11
	v_mov_b32_e32 v11, v4
	s_delay_alu instid0(VALU_DEP_1)
	v_add_nc_u64_e32 v[10:11], v[18:19], v[10:11]
.LBB0_94:                               ;   Parent Loop BB0_3 Depth=1
                                        ;     Parent Loop BB0_6 Depth=2
                                        ;       Parent Loop BB0_11 Depth=3
                                        ;         Parent Loop BB0_37 Depth=4
                                        ;           Parent Loop BB0_62 Depth=5
                                        ; =>          This Inner Loop Header: Depth=6
	v_mov_b32_e32 v5, 1
	s_and_saveexec_b32 s11, s10
	s_cbranch_execz .LBB0_96
; %bb.95:                               ;   in Loop: Header=BB0_94 Depth=6
	global_load_b32 v5, v[2:3], off offset:20 scope:SCOPE_SYS
	s_wait_loadcnt 0x0
	global_inv scope:SCOPE_SYS
	v_and_b32_e32 v5, 1, v5
.LBB0_96:                               ;   in Loop: Header=BB0_94 Depth=6
	s_wait_xcnt 0x0
	s_or_b32 exec_lo, exec_lo, s11
	s_delay_alu instid0(VALU_DEP_1)
	v_readfirstlane_b32 s11, v5
	s_cmp_eq_u32 s11, 0
	s_cbranch_scc1 .LBB0_98
; %bb.97:                               ;   in Loop: Header=BB0_94 Depth=6
	s_mov_b32 s11, 0
	s_sleep 1
	s_branch .LBB0_99
.LBB0_98:                               ;   in Loop: Header=BB0_94 Depth=6
	s_mov_b32 s11, -1
.LBB0_99:                               ;   in Loop: Header=BB0_94 Depth=6
	s_delay_alu instid0(SALU_CYCLE_1)
	s_and_not1_b32 vcc_lo, exec_lo, s11
	s_cbranch_vccnz .LBB0_94
; %bb.100:                              ;   in Loop: Header=BB0_62 Depth=5
	global_load_b64 v[2:3], v[10:11], off
	s_wait_xcnt 0x0
	s_and_saveexec_b32 s12, s10
	s_cbranch_execz .LBB0_104
; %bb.101:                              ;   in Loop: Header=BB0_62 Depth=5
	s_clause 0x2
	global_load_b64 v[10:11], v4, s[22:23] offset:40
	global_load_b64 v[98:99], v4, s[22:23] offset:24 scope:SCOPE_SYS
	global_load_b64 v[14:15], v4, s[22:23]
	s_wait_loadcnt 0x2
	v_readfirstlane_b32 s14, v10
	v_readfirstlane_b32 s15, v11
	s_add_nc_u64 s[10:11], s[14:15], 1
	s_delay_alu instid0(SALU_CYCLE_1) | instskip(NEXT) | instid1(SALU_CYCLE_1)
	s_add_nc_u64 s[24:25], s[10:11], s[24:25]
	s_cmp_eq_u64 s[24:25], 0
	s_cselect_b32 s11, s11, s25
	s_cselect_b32 s10, s10, s24
	s_delay_alu instid0(SALU_CYCLE_1) | instskip(SKIP_1) | instid1(SALU_CYCLE_1)
	v_dual_mov_b32 v97, s11 :: v_dual_mov_b32 v96, s10
	s_and_b64 s[14:15], s[10:11], s[14:15]
	s_mul_u64 s[14:15], s[14:15], 24
	s_wait_loadcnt 0x0
	v_add_nc_u64_e32 v[10:11], s[14:15], v[14:15]
	global_store_b64 v[10:11], v[98:99], off
	global_wb scope:SCOPE_SYS
	s_wait_storecnt 0x0
	s_wait_xcnt 0x0
	global_atomic_cmpswap_b64 v[28:29], v4, v[96:99], s[22:23] offset:24 th:TH_ATOMIC_RETURN scope:SCOPE_SYS
	s_wait_loadcnt 0x0
	v_cmp_ne_u64_e32 vcc_lo, v[28:29], v[98:99]
	s_and_b32 exec_lo, exec_lo, vcc_lo
	s_cbranch_execz .LBB0_104
; %bb.102:                              ;   in Loop: Header=BB0_62 Depth=5
	s_mov_b32 s14, 0
.LBB0_103:                              ;   Parent Loop BB0_3 Depth=1
                                        ;     Parent Loop BB0_6 Depth=2
                                        ;       Parent Loop BB0_11 Depth=3
                                        ;         Parent Loop BB0_37 Depth=4
                                        ;           Parent Loop BB0_62 Depth=5
                                        ; =>          This Inner Loop Header: Depth=6
	v_dual_mov_b32 v26, s10 :: v_dual_mov_b32 v27, s11
	s_sleep 1
	global_store_b64 v[10:11], v[28:29], off
	global_wb scope:SCOPE_SYS
	s_wait_storecnt 0x0
	s_wait_xcnt 0x0
	global_atomic_cmpswap_b64 v[14:15], v4, v[26:29], s[22:23] offset:24 th:TH_ATOMIC_RETURN scope:SCOPE_SYS
	s_wait_loadcnt 0x0
	v_cmp_eq_u64_e32 vcc_lo, v[14:15], v[28:29]
	v_mov_b64_e32 v[28:29], v[14:15]
	s_or_b32 s14, vcc_lo, s14
	s_delay_alu instid0(SALU_CYCLE_1)
	s_and_not1_b32 exec_lo, exec_lo, s14
	s_cbranch_execnz .LBB0_103
.LBB0_104:                              ;   in Loop: Header=BB0_62 Depth=5
	s_or_b32 exec_lo, exec_lo, s12
.LBB0_105:                              ;   in Loop: Header=BB0_62 Depth=5
	s_delay_alu instid0(SALU_CYCLE_1)
	s_or_b32 exec_lo, exec_lo, s59
	s_wait_loadcnt 0x0
	v_readfirstlane_b32 s14, v2
	v_readfirstlane_b32 s15, v3
	s_cmp_eq_u64 s[14:15], 0
	s_cbranch_scc1 .LBB0_154
; %bb.106:                              ;   in Loop: Header=BB0_62 Depth=5
	s_mov_b32 s11, exec_lo
	s_mov_b32 s10, exec_lo
	v_mbcnt_lo_u32_b32 v5, s11, 0
	s_delay_alu instid0(VALU_DEP_1)
	v_cmpx_gt_u32_e32 0x300, v5
	s_cbranch_execz .LBB0_109
; %bb.107:                              ;   in Loop: Header=BB0_62 Depth=5
	v_dual_mov_b32 v3, v4 :: v_dual_lshlrev_b32 v2, 3, v5
	s_bcnt1_i32_b32 s11, s11
	s_mov_b32 s22, 0
	s_lshl_b32 s12, s11, 3
	s_delay_alu instid0(VALU_DEP_1)
	v_add_nc_u64_e32 v[2:3], s[14:15], v[2:3]
.LBB0_108:                              ;   Parent Loop BB0_3 Depth=1
                                        ;     Parent Loop BB0_6 Depth=2
                                        ;       Parent Loop BB0_11 Depth=3
                                        ;         Parent Loop BB0_37 Depth=4
                                        ;           Parent Loop BB0_62 Depth=5
                                        ; =>          This Inner Loop Header: Depth=6
	v_add_nc_u32_e32 v5, s11, v5
	global_store_b64 v[2:3], v[34:35], off
	s_wait_xcnt 0x0
	v_add_nc_u64_e32 v[2:3], s[12:13], v[2:3]
	v_cmp_lt_u32_e32 vcc_lo, 0x2ff, v5
	s_or_b32 s22, vcc_lo, s22
	s_delay_alu instid0(SALU_CYCLE_1)
	s_and_not1_b32 exec_lo, exec_lo, s22
	s_cbranch_execnz .LBB0_108
.LBB0_109:                              ;   in Loop: Header=BB0_62 Depth=5
	s_or_b32 exec_lo, exec_lo, s10
.LBB0_110:                              ;   Parent Loop BB0_3 Depth=1
                                        ;     Parent Loop BB0_6 Depth=2
                                        ;       Parent Loop BB0_11 Depth=3
                                        ;         Parent Loop BB0_37 Depth=4
                                        ;           Parent Loop BB0_62 Depth=5
                                        ; =>          This Inner Loop Header: Depth=6
	v_mov_b32_e32 v2, s58
	s_and_saveexec_b32 s10, s7
	s_cbranch_execz .LBB0_112
; %bb.111:                              ;   in Loop: Header=BB0_110 Depth=6
	global_load_b32 v2, v[68:69], off offset:4352 scope:SCOPE_DEV
.LBB0_112:                              ;   in Loop: Header=BB0_110 Depth=6
	s_wait_xcnt 0x0
	s_or_b32 exec_lo, exec_lo, s10
	s_wait_loadcnt 0x0
	v_readfirstlane_b32 s58, v2
	s_mov_b32 s11, -1
	s_cmp_lg_u32 s58, 0x10100
	s_cbranch_scc0 .LBB0_119
; %bb.113:                              ;   in Loop: Header=BB0_110 Depth=6
	v_mov_b32_e32 v2, s57
	s_and_saveexec_b32 s10, s7
	s_cbranch_execz .LBB0_117
; %bb.114:                              ;   in Loop: Header=BB0_110 Depth=6
	s_add_co_i32 s11, s58, 0xffffff00
	v_dual_mov_b32 v2, s14 :: v_dual_mov_b32 v3, s15
	s_lshr_b32 s11, s11, 8
	v_mov_b32_e32 v5, v4
	v_mad_nc_u64_u32 v[10:11], s11, 24, v[54:55]
	global_atomic_cmpswap_b64 v[2:3], v[10:11], v[2:5], off offset:22528 th:TH_ATOMIC_RETURN scope:SCOPE_DEV
	s_wait_loadcnt 0x0
	v_cmp_eq_u64_e32 vcc_lo, 0, v[2:3]
	s_wait_xcnt 0x0
	v_mov_b32_e32 v2, s57
	s_and_saveexec_b32 s11, vcc_lo
	s_cbranch_execz .LBB0_116
; %bb.115:                              ;   in Loop: Header=BB0_110 Depth=6
	global_wb scope:SCOPE_DEV
	s_wait_storecnt 0x0
	global_atomic_add_u32 v[68:69], v84, off offset:4352 scope:SCOPE_DEV
	v_mov_b32_e32 v2, 0
.LBB0_116:                              ;   in Loop: Header=BB0_110 Depth=6
	s_wait_xcnt 0x0
	s_or_b32 exec_lo, exec_lo, s11
.LBB0_117:                              ;   in Loop: Header=BB0_110 Depth=6
	s_delay_alu instid0(SALU_CYCLE_1) | instskip(NEXT) | instid1(VALU_DEP_1)
	s_or_b32 exec_lo, exec_lo, s10
	v_readfirstlane_b32 s11, v2
	s_cmp_eq_u32 s11, 0
	s_cbranch_scc1 .LBB0_120
; %bb.118:                              ;   in Loop: Header=BB0_110 Depth=6
	s_mov_b32 s10, 0
	s_mov_b32 s57, s11
	s_sleep 2
	s_branch .LBB0_121
.LBB0_119:                              ;   in Loop: Header=BB0_110 Depth=6
	s_mov_b32 s10, -1
	s_branch .LBB0_122
.LBB0_120:                              ;   in Loop: Header=BB0_110 Depth=6
	s_mov_b32 s10, -1
.LBB0_121:                              ;   in Loop: Header=BB0_110 Depth=6
	s_mov_b32 s11, 0
.LBB0_122:                              ;   in Loop: Header=BB0_110 Depth=6
	s_and_b32 vcc_lo, exec_lo, s10
	s_cbranch_vccz .LBB0_110
; %bb.123:                              ;   in Loop: Header=BB0_62 Depth=5
	s_and_b32 vcc_lo, exec_lo, s11
	s_mov_b32 s10, 0
	s_cbranch_vccz .LBB0_153
; %bb.124:                              ;   in Loop: Header=BB0_62 Depth=5
	s_and_saveexec_b32 s24, s7
	s_cbranch_execz .LBB0_152
; %bb.125:                              ;   in Loop: Header=BB0_62 Depth=5
	s_load_b64 s[10:11], s[8:9], 0x50
	v_readfirstlane_b32 s7, v82
	v_mov_b64_e32 v[2:3], 0
	s_delay_alu instid0(VALU_DEP_2)
	v_cmp_eq_u32_e64 s7, s7, v82
	s_and_saveexec_b32 s12, s7
	s_cbranch_execz .LBB0_131
; %bb.126:                              ;   in Loop: Header=BB0_62 Depth=5
	s_wait_kmcnt 0x0
	global_load_b64 v[28:29], v4, s[10:11] offset:24 scope:SCOPE_SYS
	s_wait_loadcnt 0x0
	global_inv scope:SCOPE_SYS
	s_clause 0x1
	global_load_b64 v[2:3], v4, s[10:11] offset:40
	global_load_b64 v[10:11], v4, s[10:11]
	s_mov_b32 s22, exec_lo
	s_wait_loadcnt 0x1
	v_and_b32_e32 v2, v2, v28
	v_and_b32_e32 v3, v3, v29
	s_delay_alu instid0(VALU_DEP_1) | instskip(SKIP_1) | instid1(VALU_DEP_1)
	v_mul_u64_e32 v[2:3], 24, v[2:3]
	s_wait_loadcnt 0x0
	v_add_nc_u64_e32 v[2:3], v[10:11], v[2:3]
	global_load_b64 v[26:27], v[2:3], off scope:SCOPE_SYS
	s_wait_xcnt 0x0
	s_wait_loadcnt 0x0
	global_atomic_cmpswap_b64 v[2:3], v4, v[26:29], s[10:11] offset:24 th:TH_ATOMIC_RETURN scope:SCOPE_SYS
	s_wait_loadcnt 0x0
	global_inv scope:SCOPE_SYS
	s_wait_xcnt 0x0
	v_cmpx_ne_u64_e64 v[2:3], v[28:29]
	s_cbranch_execz .LBB0_130
; %bb.127:                              ;   in Loop: Header=BB0_62 Depth=5
	s_mov_b32 s23, 0
.LBB0_128:                              ;   Parent Loop BB0_3 Depth=1
                                        ;     Parent Loop BB0_6 Depth=2
                                        ;       Parent Loop BB0_11 Depth=3
                                        ;         Parent Loop BB0_37 Depth=4
                                        ;           Parent Loop BB0_62 Depth=5
                                        ; =>          This Inner Loop Header: Depth=6
	s_sleep 1
	s_clause 0x1
	global_load_b64 v[10:11], v4, s[10:11] offset:40
	global_load_b64 v[14:15], v4, s[10:11]
	v_mov_b64_e32 v[28:29], v[2:3]
	s_wait_loadcnt 0x1
	s_delay_alu instid0(VALU_DEP_1) | instskip(NEXT) | instid1(VALU_DEP_2)
	v_and_b32_e32 v2, v10, v28
	v_and_b32_e32 v5, v11, v29
	s_wait_loadcnt 0x0
	s_delay_alu instid0(VALU_DEP_2) | instskip(NEXT) | instid1(VALU_DEP_1)
	v_mad_nc_u64_u32 v[2:3], v2, 24, v[14:15]
	v_mad_u32 v3, v5, 24, v3
	global_load_b64 v[26:27], v[2:3], off scope:SCOPE_SYS
	s_wait_xcnt 0x0
	s_wait_loadcnt 0x0
	global_atomic_cmpswap_b64 v[2:3], v4, v[26:29], s[10:11] offset:24 th:TH_ATOMIC_RETURN scope:SCOPE_SYS
	s_wait_loadcnt 0x0
	global_inv scope:SCOPE_SYS
	v_cmp_eq_u64_e32 vcc_lo, v[2:3], v[28:29]
	s_or_b32 s23, vcc_lo, s23
	s_wait_xcnt 0x0
	s_and_not1_b32 exec_lo, exec_lo, s23
	s_cbranch_execnz .LBB0_128
; %bb.129:                              ;   in Loop: Header=BB0_62 Depth=5
	s_or_b32 exec_lo, exec_lo, s23
.LBB0_130:                              ;   in Loop: Header=BB0_62 Depth=5
	s_delay_alu instid0(SALU_CYCLE_1)
	s_or_b32 exec_lo, exec_lo, s22
.LBB0_131:                              ;   in Loop: Header=BB0_62 Depth=5
	s_delay_alu instid0(SALU_CYCLE_1)
	s_or_b32 exec_lo, exec_lo, s12
	s_wait_kmcnt 0x0
	s_clause 0x1
	global_load_b64 v[10:11], v4, s[10:11] offset:40
	global_load_b128 v[26:29], v4, s[10:11]
	v_readfirstlane_b32 s22, v2
	v_readfirstlane_b32 s23, v3
	s_mov_b32 s12, exec_lo
	s_wait_loadcnt 0x1
	v_and_b32_e32 v14, s22, v10
	v_and_b32_e32 v15, s23, v11
	s_delay_alu instid0(VALU_DEP_1) | instskip(SKIP_1) | instid1(VALU_DEP_1)
	v_mul_u64_e32 v[2:3], 24, v[14:15]
	s_wait_loadcnt 0x0
	v_add_nc_u64_e32 v[2:3], v[26:27], v[2:3]
	s_wait_xcnt 0x0
	s_and_saveexec_b32 s25, s7
	s_cbranch_execz .LBB0_133
; %bb.132:                              ;   in Loop: Header=BB0_62 Depth=5
	v_dual_mov_b32 v10, s12 :: v_dual_mov_b32 v11, v4
	global_store_b128 v[2:3], v[10:13], off offset:8
.LBB0_133:                              ;   in Loop: Header=BB0_62 Depth=5
	s_wait_xcnt 0x0
	s_or_b32 exec_lo, exec_lo, s25
	v_lshlrev_b64_e32 v[10:11], 12, v[14:15]
	v_mov_b64_e32 v[14:15], s[14:15]
	s_mov_b32 s14, s13
	s_mov_b32 s15, s13
	;; [unrolled: 1-line block ×3, first 2 shown]
	v_mov_b64_e32 v[98:99], s[14:15]
	v_mov_b64_e32 v[96:97], s[12:13]
	v_add_nc_u64_e32 v[10:11], v[28:29], v[10:11]
	v_lshlrev_b32_e32 v5, 6, v82
	s_delay_alu instid0(VALU_DEP_2) | instskip(NEXT) | instid1(VALU_DEP_3)
	v_readfirstlane_b32 s58, v10
	v_readfirstlane_b32 s59, v11
	s_clause 0x4
	global_store_b64 v5, v[14:15], s[58:59]
	global_store_b128 v5, v[96:99], s[58:59] offset:8
	global_store_b128 v5, v[96:99], s[58:59] offset:24
	;; [unrolled: 1-line block ×3, first 2 shown]
	global_store_b64 v5, v[34:35], s[58:59] offset:56
	s_wait_xcnt 0x0
	s_and_saveexec_b32 s12, s7
	s_cbranch_execz .LBB0_141
; %bb.134:                              ;   in Loop: Header=BB0_62 Depth=5
	s_clause 0x1
	global_load_b64 v[98:99], v4, s[10:11] offset:32 scope:SCOPE_SYS
	global_load_b64 v[10:11], v4, s[10:11] offset:40
	s_mov_b32 s14, exec_lo
	v_dual_mov_b32 v96, s22 :: v_dual_mov_b32 v97, s23
	s_wait_loadcnt 0x0
	v_and_b32_e32 v11, s23, v11
	v_and_b32_e32 v10, s22, v10
	s_delay_alu instid0(VALU_DEP_1) | instskip(NEXT) | instid1(VALU_DEP_1)
	v_mul_u64_e32 v[10:11], 24, v[10:11]
	v_add_nc_u64_e32 v[10:11], v[26:27], v[10:11]
	global_store_b64 v[10:11], v[98:99], off
	global_wb scope:SCOPE_SYS
	s_wait_storecnt 0x0
	s_wait_xcnt 0x0
	global_atomic_cmpswap_b64 v[28:29], v4, v[96:99], s[10:11] offset:32 th:TH_ATOMIC_RETURN scope:SCOPE_SYS
	s_wait_loadcnt 0x0
	v_cmpx_ne_u64_e64 v[28:29], v[98:99]
	s_cbranch_execz .LBB0_137
; %bb.135:                              ;   in Loop: Header=BB0_62 Depth=5
	s_mov_b32 s15, 0
.LBB0_136:                              ;   Parent Loop BB0_3 Depth=1
                                        ;     Parent Loop BB0_6 Depth=2
                                        ;       Parent Loop BB0_11 Depth=3
                                        ;         Parent Loop BB0_37 Depth=4
                                        ;           Parent Loop BB0_62 Depth=5
                                        ; =>          This Inner Loop Header: Depth=6
	v_dual_mov_b32 v26, s22 :: v_dual_mov_b32 v27, s23
	s_sleep 1
	global_store_b64 v[10:11], v[28:29], off
	global_wb scope:SCOPE_SYS
	s_wait_storecnt 0x0
	s_wait_xcnt 0x0
	global_atomic_cmpswap_b64 v[14:15], v4, v[26:29], s[10:11] offset:32 th:TH_ATOMIC_RETURN scope:SCOPE_SYS
	s_wait_loadcnt 0x0
	v_cmp_eq_u64_e32 vcc_lo, v[14:15], v[28:29]
	v_mov_b64_e32 v[28:29], v[14:15]
	s_or_b32 s15, vcc_lo, s15
	s_delay_alu instid0(SALU_CYCLE_1)
	s_and_not1_b32 exec_lo, exec_lo, s15
	s_cbranch_execnz .LBB0_136
.LBB0_137:                              ;   in Loop: Header=BB0_62 Depth=5
	s_or_b32 exec_lo, exec_lo, s14
	global_load_b64 v[10:11], v4, s[10:11] offset:16
	s_mov_b32 s15, exec_lo
	s_mov_b32 s14, exec_lo
	v_mbcnt_lo_u32_b32 v5, s15, 0
	s_wait_xcnt 0x0
	s_delay_alu instid0(VALU_DEP_1)
	v_cmpx_eq_u32_e32 0, v5
	s_cbranch_execz .LBB0_139
; %bb.138:                              ;   in Loop: Header=BB0_62 Depth=5
	s_bcnt1_i32_b32 s15, s15
	s_delay_alu instid0(SALU_CYCLE_1)
	v_dual_mov_b32 v15, v4 :: v_dual_mov_b32 v14, s15
	global_wb scope:SCOPE_SYS
	s_wait_loadcnt 0x0
	s_wait_storecnt 0x0
	global_atomic_add_u64 v[10:11], v[14:15], off offset:8 scope:SCOPE_SYS
.LBB0_139:                              ;   in Loop: Header=BB0_62 Depth=5
	s_wait_xcnt 0x0
	s_or_b32 exec_lo, exec_lo, s14
	s_wait_loadcnt 0x0
	global_load_b64 v[14:15], v[10:11], off offset:16
	s_wait_loadcnt 0x0
	v_cmp_eq_u64_e32 vcc_lo, 0, v[14:15]
	s_cbranch_vccnz .LBB0_141
; %bb.140:                              ;   in Loop: Header=BB0_62 Depth=5
	global_load_b32 v10, v[10:11], off offset:24
	s_wait_xcnt 0x0
	v_mov_b32_e32 v11, v4
	s_wait_loadcnt 0x0
	v_readfirstlane_b32 s14, v10
	global_wb scope:SCOPE_SYS
	s_wait_storecnt 0x0
	global_store_b64 v[14:15], v[10:11], off scope:SCOPE_SYS
	s_and_b32 m0, s14, 0xffffff
	s_sendmsg sendmsg(MSG_INTERRUPT)
.LBB0_141:                              ;   in Loop: Header=BB0_62 Depth=5
	s_wait_xcnt 0x0
	s_or_b32 exec_lo, exec_lo, s12
.LBB0_142:                              ;   Parent Loop BB0_3 Depth=1
                                        ;     Parent Loop BB0_6 Depth=2
                                        ;       Parent Loop BB0_11 Depth=3
                                        ;         Parent Loop BB0_37 Depth=4
                                        ;           Parent Loop BB0_62 Depth=5
                                        ; =>          This Inner Loop Header: Depth=6
	v_mov_b32_e32 v5, 1
	s_and_saveexec_b32 s12, s7
	s_cbranch_execz .LBB0_144
; %bb.143:                              ;   in Loop: Header=BB0_142 Depth=6
	global_load_b32 v5, v[2:3], off offset:20 scope:SCOPE_SYS
	s_wait_loadcnt 0x0
	global_inv scope:SCOPE_SYS
	v_and_b32_e32 v5, 1, v5
.LBB0_144:                              ;   in Loop: Header=BB0_142 Depth=6
	s_wait_xcnt 0x0
	s_or_b32 exec_lo, exec_lo, s12
	s_delay_alu instid0(VALU_DEP_1)
	v_readfirstlane_b32 s12, v5
	s_cmp_eq_u32 s12, 0
	s_cbranch_scc1 .LBB0_146
; %bb.145:                              ;   in Loop: Header=BB0_142 Depth=6
	s_mov_b32 s12, 0
	s_sleep 1
	s_branch .LBB0_147
.LBB0_146:                              ;   in Loop: Header=BB0_142 Depth=6
	s_mov_b32 s12, -1
.LBB0_147:                              ;   in Loop: Header=BB0_142 Depth=6
	s_delay_alu instid0(SALU_CYCLE_1)
	s_and_not1_b32 vcc_lo, exec_lo, s12
	s_cbranch_vccnz .LBB0_142
; %bb.148:                              ;   in Loop: Header=BB0_62 Depth=5
	s_and_b32 exec_lo, exec_lo, s7
	s_cbranch_execz .LBB0_152
; %bb.149:                              ;   in Loop: Header=BB0_62 Depth=5
	s_clause 0x2
	global_load_b64 v[2:3], v4, s[10:11] offset:40
	global_load_b64 v[98:99], v4, s[10:11] offset:24 scope:SCOPE_SYS
	global_load_b64 v[10:11], v4, s[10:11]
	s_wait_loadcnt 0x2
	v_readfirstlane_b32 s58, v2
	v_readfirstlane_b32 s59, v3
	s_add_nc_u64 s[14:15], s[58:59], 1
	s_delay_alu instid0(SALU_CYCLE_1) | instskip(NEXT) | instid1(SALU_CYCLE_1)
	s_add_nc_u64 s[22:23], s[14:15], s[22:23]
	s_cmp_eq_u64 s[22:23], 0
	s_cselect_b32 s15, s15, s23
	s_cselect_b32 s14, s14, s22
	s_delay_alu instid0(SALU_CYCLE_1) | instskip(SKIP_1) | instid1(SALU_CYCLE_1)
	v_dual_mov_b32 v97, s15 :: v_dual_mov_b32 v96, s14
	s_and_b64 s[22:23], s[14:15], s[58:59]
	s_mul_u64 s[22:23], s[22:23], 24
	s_wait_loadcnt 0x0
	v_add_nc_u64_e32 v[2:3], s[22:23], v[10:11]
	global_store_b64 v[2:3], v[98:99], off
	global_wb scope:SCOPE_SYS
	s_wait_storecnt 0x0
	s_wait_xcnt 0x0
	global_atomic_cmpswap_b64 v[28:29], v4, v[96:99], s[10:11] offset:24 th:TH_ATOMIC_RETURN scope:SCOPE_SYS
	s_wait_loadcnt 0x0
	v_cmp_ne_u64_e32 vcc_lo, v[28:29], v[98:99]
	s_and_b32 exec_lo, exec_lo, vcc_lo
	s_cbranch_execz .LBB0_152
; %bb.150:                              ;   in Loop: Header=BB0_62 Depth=5
	s_mov_b32 s7, 0
.LBB0_151:                              ;   Parent Loop BB0_3 Depth=1
                                        ;     Parent Loop BB0_6 Depth=2
                                        ;       Parent Loop BB0_11 Depth=3
                                        ;         Parent Loop BB0_37 Depth=4
                                        ;           Parent Loop BB0_62 Depth=5
                                        ; =>          This Inner Loop Header: Depth=6
	v_dual_mov_b32 v26, s14 :: v_dual_mov_b32 v27, s15
	s_sleep 1
	global_store_b64 v[2:3], v[28:29], off
	global_wb scope:SCOPE_SYS
	s_wait_storecnt 0x0
	s_wait_xcnt 0x0
	global_atomic_cmpswap_b64 v[10:11], v4, v[26:29], s[10:11] offset:24 th:TH_ATOMIC_RETURN scope:SCOPE_SYS
	s_wait_loadcnt 0x0
	v_cmp_eq_u64_e32 vcc_lo, v[10:11], v[28:29]
	v_mov_b64_e32 v[28:29], v[10:11]
	s_or_b32 s7, vcc_lo, s7
	s_delay_alu instid0(SALU_CYCLE_1)
	s_and_not1_b32 exec_lo, exec_lo, s7
	s_cbranch_execnz .LBB0_151
.LBB0_152:                              ;   in Loop: Header=BB0_62 Depth=5
	s_or_b32 exec_lo, exec_lo, s24
	s_mov_b32 s10, s57
.LBB0_153:                              ;   in Loop: Header=BB0_62 Depth=5
	s_delay_alu instid0(SALU_CYCLE_1)
	s_mov_b32 s57, s10
.LBB0_154:                              ;   in Loop: Header=BB0_62 Depth=5
	s_delay_alu instid0(SALU_CYCLE_1)
	s_mov_b32 s22, s57
.LBB0_155:                              ;   in Loop: Header=BB0_62 Depth=5
	s_delay_alu instid0(SALU_CYCLE_1) | instskip(SKIP_1) | instid1(SALU_CYCLE_1)
	s_cmp_eq_u32 s22, 0
	s_cselect_b32 s7, -1, 0
	s_and_b32 vcc_lo, exec_lo, s7
	s_cbranch_vccnz .LBB0_176
; %bb.156:                              ;   in Loop: Header=BB0_62 Depth=5
	v_mbcnt_lo_u32_b32 v2, exec_lo, 0
	s_mov_b32 s23, exec_lo
	s_delay_alu instid0(VALU_DEP_1)
	v_cmpx_eq_u32_e32 0, v2
	s_cbranch_execz .LBB0_173
; %bb.157:                              ;   in Loop: Header=BB0_62 Depth=5
	global_load_b64 v[2:3], v[68:69], off offset:8448 scope:SCOPE_DEV
	s_sendmsg_rtn_b64 s[10:11], sendmsg(MSG_RTN_GET_REALTIME)
	s_wait_loadcnt 0x0
	s_wait_kmcnt 0x0
	v_sub_nc_u64_e32 v[2:3], s[10:11], v[2:3]
	s_delay_alu instid0(VALU_DEP_1)
	v_cmp_gt_u64_e32 vcc_lo, 0x7530, v[2:3]
	s_wait_xcnt 0x0
	s_and_b32 exec_lo, exec_lo, vcc_lo
	s_cbranch_execz .LBB0_173
; %bb.158:                              ;   in Loop: Header=BB0_62 Depth=5
	v_readfirstlane_b32 s10, v2
	s_sendmsg_rtn_b64 s[14:15], sendmsg(MSG_RTN_GET_REALTIME)
	s_sub_co_i32 s12, 0x7530, s10
	s_wait_kmcnt 0x0
	s_add_nc_u64 s[10:11], s[12:13], s[14:15]
.LBB0_159:                              ;   Parent Loop BB0_3 Depth=1
                                        ;     Parent Loop BB0_6 Depth=2
                                        ;       Parent Loop BB0_11 Depth=3
                                        ;         Parent Loop BB0_37 Depth=4
                                        ;           Parent Loop BB0_62 Depth=5
                                        ; =>          This Inner Loop Header: Depth=6
	s_wait_kmcnt 0x0
	s_add_nc_u64 s[24:25], s[14:15], 0x659
	s_delay_alu instid0(SALU_CYCLE_1)
	v_cmp_le_u64_e64 s12, s[10:11], s[24:25]
	s_and_b32 vcc_lo, exec_lo, s12
	s_cbranch_vccnz .LBB0_162
; %bb.160:                              ;   in Loop: Header=BB0_159 Depth=6
	s_sleep 0x7f
	s_sendmsg_rtn_b64 s[14:15], sendmsg(MSG_RTN_GET_REALTIME)
	s_branch .LBB0_159
.LBB0_161:                              ;   in Loop: Header=BB0_162 Depth=6
	s_sleep 63
	s_sendmsg_rtn_b64 s[14:15], sendmsg(MSG_RTN_GET_REALTIME)
.LBB0_162:                              ;   Parent Loop BB0_3 Depth=1
                                        ;     Parent Loop BB0_6 Depth=2
                                        ;       Parent Loop BB0_11 Depth=3
                                        ;         Parent Loop BB0_37 Depth=4
                                        ;           Parent Loop BB0_62 Depth=5
                                        ; =>          This Inner Loop Header: Depth=6
	s_wait_kmcnt 0x0
	s_add_nc_u64 s[24:25], s[14:15], 0x326
	s_delay_alu instid0(SALU_CYCLE_1)
	v_cmp_le_u64_e64 s12, s[10:11], s[24:25]
	s_and_b32 vcc_lo, exec_lo, s12
	s_cbranch_vccz .LBB0_161
; %bb.163:                              ;   in Loop: Header=BB0_62 Depth=5
	s_add_nc_u64 s[24:25], s[14:15], 0x18c
	s_delay_alu instid0(SALU_CYCLE_1)
	v_cmp_le_u64_e64 s12, s[10:11], s[24:25]
	s_and_b32 vcc_lo, exec_lo, s12
	s_cbranch_vccnz .LBB0_166
.LBB0_164:                              ;   Parent Loop BB0_3 Depth=1
                                        ;     Parent Loop BB0_6 Depth=2
                                        ;       Parent Loop BB0_11 Depth=3
                                        ;         Parent Loop BB0_37 Depth=4
                                        ;           Parent Loop BB0_62 Depth=5
                                        ; =>          This Inner Loop Header: Depth=6
	s_sleep 31
	s_sendmsg_rtn_b64 s[14:15], sendmsg(MSG_RTN_GET_REALTIME)
	s_wait_kmcnt 0x0
	s_add_nc_u64 s[24:25], s[14:15], 0x18c
	s_delay_alu instid0(SALU_CYCLE_1)
	v_cmp_gt_u64_e64 s12, s[10:11], s[24:25]
	s_and_b32 vcc_lo, exec_lo, s12
	s_cbranch_vccnz .LBB0_164
	s_branch .LBB0_166
.LBB0_165:                              ;   in Loop: Header=BB0_166 Depth=6
	s_sleep 15
	s_sendmsg_rtn_b64 s[14:15], sendmsg(MSG_RTN_GET_REALTIME)
.LBB0_166:                              ;   Parent Loop BB0_3 Depth=1
                                        ;     Parent Loop BB0_6 Depth=2
                                        ;       Parent Loop BB0_11 Depth=3
                                        ;         Parent Loop BB0_37 Depth=4
                                        ;           Parent Loop BB0_62 Depth=5
                                        ; =>          This Inner Loop Header: Depth=6
	s_wait_kmcnt 0x0
	s_add_nc_u64 s[24:25], s[14:15], 0xc0
	s_delay_alu instid0(SALU_CYCLE_1)
	v_cmp_le_u64_e64 s12, s[10:11], s[24:25]
	s_and_b32 vcc_lo, exec_lo, s12
	s_cbranch_vccz .LBB0_165
	s_branch .LBB0_168
.LBB0_167:                              ;   in Loop: Header=BB0_168 Depth=6
	s_sleep 7
	s_sendmsg_rtn_b64 s[14:15], sendmsg(MSG_RTN_GET_REALTIME)
.LBB0_168:                              ;   Parent Loop BB0_3 Depth=1
                                        ;     Parent Loop BB0_6 Depth=2
                                        ;       Parent Loop BB0_11 Depth=3
                                        ;         Parent Loop BB0_37 Depth=4
                                        ;           Parent Loop BB0_62 Depth=5
                                        ; =>          This Inner Loop Header: Depth=6
	s_wait_kmcnt 0x0
	s_add_nc_u64 s[24:25], s[14:15], 0x59
	s_delay_alu instid0(SALU_CYCLE_1)
	v_cmp_le_u64_e64 s12, s[10:11], s[24:25]
	s_and_b32 vcc_lo, exec_lo, s12
	s_cbranch_vccz .LBB0_167
	;; [unrolled: 16-line block ×3, first 2 shown]
; %bb.171:                              ;   in Loop: Header=BB0_62 Depth=5
	v_cmp_le_u64_e64 s12, s[10:11], s[14:15]
	s_and_b32 vcc_lo, exec_lo, s12
	s_cbranch_vccnz .LBB0_173
.LBB0_172:                              ;   Parent Loop BB0_3 Depth=1
                                        ;     Parent Loop BB0_6 Depth=2
                                        ;       Parent Loop BB0_11 Depth=3
                                        ;         Parent Loop BB0_37 Depth=4
                                        ;           Parent Loop BB0_62 Depth=5
                                        ; =>          This Inner Loop Header: Depth=6
	s_sleep 1
	s_sendmsg_rtn_b64 s[14:15], sendmsg(MSG_RTN_GET_REALTIME)
	s_wait_kmcnt 0x0
	v_cmp_gt_u64_e64 s12, s[10:11], s[14:15]
	s_and_b32 vcc_lo, exec_lo, s12
	s_cbranch_vccnz .LBB0_172
.LBB0_173:                              ;   in Loop: Header=BB0_62 Depth=5
	s_or_b32 exec_lo, exec_lo, s23
	s_cmp_lg_u32 s22, 2
	v_mov_b32_e32 v71, s13
	s_cselect_b32 s10, -1, 0
	s_delay_alu instid0(SALU_CYCLE_1)
	v_cndmask_b32_e64 v70, 0, 1, s10
	s_branch .LBB0_176
.LBB0_174:                              ;   in Loop: Header=BB0_62 Depth=5
	v_mov_b64_e32 v[70:71], 0
	s_mov_b32 s7, 0
	s_branch .LBB0_290
.LBB0_175:                              ;   in Loop: Header=BB0_62 Depth=5
	s_mov_b32 s7, -1
.LBB0_176:                              ;   in Loop: Header=BB0_62 Depth=5
	s_delay_alu instid0(SALU_CYCLE_1)
	s_and_b32 vcc_lo, exec_lo, s7
	s_mov_b32 s7, 0
	s_cbranch_vccz .LBB0_290
; %bb.177:                              ;   in Loop: Header=BB0_62 Depth=5
	v_mov_b32_e32 v2, 1
	s_and_saveexec_b32 s7, s6
	s_cbranch_execz .LBB0_181
; %bb.178:                              ;   in Loop: Header=BB0_62 Depth=5
	global_load_b64 v[28:29], v[68:69], off offset:6400 scope:SCOPE_DEV
	s_sendmsg_rtn_b64 s[10:11], sendmsg(MSG_RTN_GET_REALTIME)
	s_wait_loadcnt 0x0
	s_wait_kmcnt 0x0
	v_sub_nc_u64_e32 v[2:3], s[10:11], v[28:29]
	s_delay_alu instid0(VALU_DEP_1)
	v_cmp_lt_u64_e32 vcc_lo, 0x4e1f, v[2:3]
	v_mov_b32_e32 v2, 1
	s_wait_xcnt 0x0
	s_and_saveexec_b32 s12, vcc_lo
	s_cbranch_execz .LBB0_180
; %bb.179:                              ;   in Loop: Header=BB0_62 Depth=5
	v_dual_mov_b32 v26, s10 :: v_dual_mov_b32 v27, s11
	global_atomic_cmpswap_b64 v[2:3], v[68:69], v[26:29], off offset:6400 th:TH_ATOMIC_RETURN scope:SCOPE_DEV
	s_wait_loadcnt 0x0
	v_cmp_ne_u64_e32 vcc_lo, v[2:3], v[28:29]
	v_cndmask_b32_e64 v2, 0, 1, vcc_lo
.LBB0_180:                              ;   in Loop: Header=BB0_62 Depth=5
	s_wait_xcnt 0x0
	s_or_b32 exec_lo, exec_lo, s12
.LBB0_181:                              ;   in Loop: Header=BB0_62 Depth=5
	s_delay_alu instid0(SALU_CYCLE_1) | instskip(NEXT) | instid1(VALU_DEP_1)
	s_or_b32 exec_lo, exec_lo, s7
	v_readfirstlane_b32 s12, v2
	s_mov_b32 s7, 0
	v_mov_b64_e32 v[2:3], s[12:13]
	s_cmp_lg_u64 s[12:13], 0
	s_cbranch_scc1 .LBB0_289
; %bb.182:                              ;   in Loop: Header=BB0_62 Depth=5
	v_mov_b64_e32 v[2:3], 0
	v_mov_b64_e32 v[10:11], 0
	s_and_saveexec_b32 s24, s6
	s_cbranch_execz .LBB0_217
; %bb.183:                              ;   in Loop: Header=BB0_62 Depth=5
	s_clause 0x1
	global_load_b64 v[10:11], v4, s[16:17] offset:108544 scope:SCOPE_DEV
	global_load_b64 v[14:15], v4, s[16:17] offset:108552
	s_mov_b32 s7, -1
	s_wait_loadcnt 0x0
	v_cmp_ge_u64_e32 vcc_lo, v[10:11], v[14:15]
                                        ; implicit-def: $vgpr10_vgpr11
	s_cbranch_vccnz .LBB0_187
; %bb.184:                              ;   in Loop: Header=BB0_62 Depth=5
	s_mov_b32 s10, exec_lo
	s_mov_b32 s7, exec_lo
	v_mbcnt_lo_u32_b32 v5, s10, 0
                                        ; implicit-def: $vgpr10_vgpr11
	s_wait_xcnt 0x0
	s_delay_alu instid0(VALU_DEP_1)
	v_cmpx_eq_u32_e32 0, v5
	s_cbranch_execz .LBB0_186
; %bb.185:                              ;   in Loop: Header=BB0_62 Depth=5
	s_bcnt1_i32_b32 s10, s10
	v_mov_b32_e32 v11, v4
	s_lshl_b32 s10, s10, 21
	s_delay_alu instid0(SALU_CYCLE_1)
	v_mov_b32_e32 v10, s10
	global_atomic_add_u64 v[10:11], v4, v[10:11], s[16:17] offset:108544 th:TH_ATOMIC_RETURN scope:SCOPE_DEV
.LBB0_186:                              ;   in Loop: Header=BB0_62 Depth=5
	s_wait_xcnt 0x0
	s_or_b32 exec_lo, exec_lo, s7
	s_wait_loadcnt 0x0
	v_readfirstlane_b32 s11, v11
	v_readfirstlane_b32 s10, v10
	s_delay_alu instid0(VALU_DEP_1) | instskip(NEXT) | instid1(VALU_DEP_1)
	v_mad_nc_u64_u32 v[10:11], 0x200000, v5, s[10:11]
	v_cmp_ge_u64_e64 s7, v[10:11], v[14:15]
.LBB0_187:                              ;   in Loop: Header=BB0_62 Depth=5
	s_wait_xcnt 0x0
	s_delay_alu instid0(VALU_DEP_1)
	s_and_saveexec_b32 s25, s7
	s_cbranch_execz .LBB0_216
; %bb.188:                              ;   in Loop: Header=BB0_62 Depth=5
	s_load_b64 s[10:11], s[8:9], 0x50
	v_readfirstlane_b32 s7, v82
	v_mov_b64_e32 v[10:11], 0
	s_delay_alu instid0(VALU_DEP_2)
	v_cmp_eq_u32_e64 s7, s7, v82
	s_and_saveexec_b32 s12, s7
	s_cbranch_execz .LBB0_194
; %bb.189:                              ;   in Loop: Header=BB0_62 Depth=5
	s_wait_kmcnt 0x0
	global_load_b64 v[28:29], v4, s[10:11] offset:24 scope:SCOPE_SYS
	s_wait_loadcnt 0x0
	global_inv scope:SCOPE_SYS
	s_clause 0x1
	global_load_b64 v[10:11], v4, s[10:11] offset:40
	global_load_b64 v[14:15], v4, s[10:11]
	s_mov_b32 s14, exec_lo
	s_wait_loadcnt 0x1
	v_and_b32_e32 v10, v10, v28
	v_and_b32_e32 v11, v11, v29
	s_delay_alu instid0(VALU_DEP_1) | instskip(SKIP_1) | instid1(VALU_DEP_1)
	v_mul_u64_e32 v[10:11], 24, v[10:11]
	s_wait_loadcnt 0x0
	v_add_nc_u64_e32 v[10:11], v[14:15], v[10:11]
	global_load_b64 v[26:27], v[10:11], off scope:SCOPE_SYS
	s_wait_xcnt 0x0
	s_wait_loadcnt 0x0
	global_atomic_cmpswap_b64 v[10:11], v4, v[26:29], s[10:11] offset:24 th:TH_ATOMIC_RETURN scope:SCOPE_SYS
	s_wait_loadcnt 0x0
	global_inv scope:SCOPE_SYS
	s_wait_xcnt 0x0
	v_cmpx_ne_u64_e64 v[10:11], v[28:29]
	s_cbranch_execz .LBB0_193
; %bb.190:                              ;   in Loop: Header=BB0_62 Depth=5
	s_mov_b32 s15, 0
.LBB0_191:                              ;   Parent Loop BB0_3 Depth=1
                                        ;     Parent Loop BB0_6 Depth=2
                                        ;       Parent Loop BB0_11 Depth=3
                                        ;         Parent Loop BB0_37 Depth=4
                                        ;           Parent Loop BB0_62 Depth=5
                                        ; =>          This Inner Loop Header: Depth=6
	s_sleep 1
	s_clause 0x1
	global_load_b64 v[14:15], v4, s[10:11] offset:40
	global_load_b64 v[18:19], v4, s[10:11]
	v_mov_b64_e32 v[28:29], v[10:11]
	s_wait_loadcnt 0x1
	s_delay_alu instid0(VALU_DEP_1) | instskip(SKIP_1) | instid1(VALU_DEP_1)
	v_and_b32_e32 v5, v14, v28
	s_wait_loadcnt 0x0
	v_mad_nc_u64_u32 v[10:11], v5, 24, v[18:19]
	s_delay_alu instid0(VALU_DEP_3) | instskip(NEXT) | instid1(VALU_DEP_1)
	v_and_b32_e32 v5, v15, v29
	v_mad_u32 v11, v5, 24, v11
	global_load_b64 v[26:27], v[10:11], off scope:SCOPE_SYS
	s_wait_xcnt 0x0
	s_wait_loadcnt 0x0
	global_atomic_cmpswap_b64 v[10:11], v4, v[26:29], s[10:11] offset:24 th:TH_ATOMIC_RETURN scope:SCOPE_SYS
	s_wait_loadcnt 0x0
	global_inv scope:SCOPE_SYS
	v_cmp_eq_u64_e32 vcc_lo, v[10:11], v[28:29]
	s_or_b32 s15, vcc_lo, s15
	s_wait_xcnt 0x0
	s_and_not1_b32 exec_lo, exec_lo, s15
	s_cbranch_execnz .LBB0_191
; %bb.192:                              ;   in Loop: Header=BB0_62 Depth=5
	s_or_b32 exec_lo, exec_lo, s15
.LBB0_193:                              ;   in Loop: Header=BB0_62 Depth=5
	s_delay_alu instid0(SALU_CYCLE_1)
	s_or_b32 exec_lo, exec_lo, s14
.LBB0_194:                              ;   in Loop: Header=BB0_62 Depth=5
	s_delay_alu instid0(SALU_CYCLE_1)
	s_or_b32 exec_lo, exec_lo, s12
	s_wait_kmcnt 0x0
	s_clause 0x1
	global_load_b64 v[14:15], v4, s[10:11] offset:40
	global_load_b128 v[26:29], v4, s[10:11]
	v_readfirstlane_b32 s22, v10
	v_readfirstlane_b32 s23, v11
	s_mov_b32 s12, exec_lo
	s_wait_loadcnt 0x1
	v_and_b32_e32 v18, s22, v14
	v_and_b32_e32 v19, s23, v15
	s_delay_alu instid0(VALU_DEP_1) | instskip(SKIP_1) | instid1(VALU_DEP_1)
	v_mul_u64_e32 v[10:11], 24, v[18:19]
	s_wait_loadcnt 0x0
	v_add_nc_u64_e32 v[14:15], v[26:27], v[10:11]
	s_wait_xcnt 0x0
	s_and_saveexec_b32 s14, s7
	s_cbranch_execz .LBB0_196
; %bb.195:                              ;   in Loop: Header=BB0_62 Depth=5
	v_dual_mov_b32 v10, s12 :: v_dual_mov_b32 v11, v4
	global_store_b128 v[14:15], v[10:13], off offset:8
.LBB0_196:                              ;   in Loop: Header=BB0_62 Depth=5
	s_wait_xcnt 0x0
	s_or_b32 exec_lo, exec_lo, s14
	v_lshlrev_b64_e32 v[18:19], 12, v[18:19]
	s_mov_b32 s14, s13
	s_mov_b32 s15, s13
	;; [unrolled: 1-line block ×3, first 2 shown]
	v_mov_b64_e32 v[98:99], s[14:15]
	v_mov_b64_e32 v[96:97], s[12:13]
	v_lshlrev_b32_e32 v10, 6, v82
	v_add_nc_u64_e32 v[80:81], v[28:29], v[18:19]
	v_dual_mov_b32 v18, v4 :: v_dual_mov_b32 v19, v4
	v_mov_b32_e32 v21, v4
	s_delay_alu instid0(VALU_DEP_3) | instskip(NEXT) | instid1(VALU_DEP_4)
	v_readfirstlane_b32 s58, v80
	v_readfirstlane_b32 s59, v81
	s_clause 0x3
	global_store_b128 v10, v[18:21], s[58:59]
	global_store_b128 v10, v[96:99], s[58:59] offset:16
	global_store_b128 v10, v[96:99], s[58:59] offset:32
	;; [unrolled: 1-line block ×3, first 2 shown]
	s_wait_xcnt 0x0
	s_and_saveexec_b32 s12, s7
	s_cbranch_execz .LBB0_204
; %bb.197:                              ;   in Loop: Header=BB0_62 Depth=5
	s_clause 0x1
	global_load_b64 v[98:99], v4, s[10:11] offset:32 scope:SCOPE_SYS
	global_load_b64 v[18:19], v4, s[10:11] offset:40
	s_mov_b32 s14, exec_lo
	v_dual_mov_b32 v96, s22 :: v_dual_mov_b32 v97, s23
	s_wait_loadcnt 0x0
	v_and_b32_e32 v19, s23, v19
	v_and_b32_e32 v18, s22, v18
	s_delay_alu instid0(VALU_DEP_1) | instskip(NEXT) | instid1(VALU_DEP_1)
	v_mul_u64_e32 v[18:19], 24, v[18:19]
	v_add_nc_u64_e32 v[18:19], v[26:27], v[18:19]
	global_store_b64 v[18:19], v[98:99], off
	global_wb scope:SCOPE_SYS
	s_wait_storecnt 0x0
	s_wait_xcnt 0x0
	global_atomic_cmpswap_b64 v[28:29], v4, v[96:99], s[10:11] offset:32 th:TH_ATOMIC_RETURN scope:SCOPE_SYS
	s_wait_loadcnt 0x0
	v_cmpx_ne_u64_e64 v[28:29], v[98:99]
	s_cbranch_execz .LBB0_200
; %bb.198:                              ;   in Loop: Header=BB0_62 Depth=5
	s_mov_b32 s15, 0
.LBB0_199:                              ;   Parent Loop BB0_3 Depth=1
                                        ;     Parent Loop BB0_6 Depth=2
                                        ;       Parent Loop BB0_11 Depth=3
                                        ;         Parent Loop BB0_37 Depth=4
                                        ;           Parent Loop BB0_62 Depth=5
                                        ; =>          This Inner Loop Header: Depth=6
	v_dual_mov_b32 v26, s22 :: v_dual_mov_b32 v27, s23
	s_sleep 1
	global_store_b64 v[18:19], v[28:29], off
	global_wb scope:SCOPE_SYS
	s_wait_storecnt 0x0
	s_wait_xcnt 0x0
	global_atomic_cmpswap_b64 v[26:27], v4, v[26:29], s[10:11] offset:32 th:TH_ATOMIC_RETURN scope:SCOPE_SYS
	s_wait_loadcnt 0x0
	v_cmp_eq_u64_e32 vcc_lo, v[26:27], v[28:29]
	v_mov_b64_e32 v[28:29], v[26:27]
	s_or_b32 s15, vcc_lo, s15
	s_delay_alu instid0(SALU_CYCLE_1)
	s_and_not1_b32 exec_lo, exec_lo, s15
	s_cbranch_execnz .LBB0_199
.LBB0_200:                              ;   in Loop: Header=BB0_62 Depth=5
	s_or_b32 exec_lo, exec_lo, s14
	global_load_b64 v[18:19], v4, s[10:11] offset:16
	s_mov_b32 s15, exec_lo
	s_mov_b32 s14, exec_lo
	v_mbcnt_lo_u32_b32 v5, s15, 0
	s_wait_xcnt 0x0
	s_delay_alu instid0(VALU_DEP_1)
	v_cmpx_eq_u32_e32 0, v5
	s_cbranch_execz .LBB0_202
; %bb.201:                              ;   in Loop: Header=BB0_62 Depth=5
	s_bcnt1_i32_b32 s15, s15
	s_delay_alu instid0(SALU_CYCLE_1)
	v_dual_mov_b32 v27, v4 :: v_dual_mov_b32 v26, s15
	global_wb scope:SCOPE_SYS
	s_wait_loadcnt 0x0
	s_wait_storecnt 0x0
	global_atomic_add_u64 v[18:19], v[26:27], off offset:8 scope:SCOPE_SYS
.LBB0_202:                              ;   in Loop: Header=BB0_62 Depth=5
	s_wait_xcnt 0x0
	s_or_b32 exec_lo, exec_lo, s14
	s_wait_loadcnt 0x0
	global_load_b64 v[26:27], v[18:19], off offset:16
	s_wait_loadcnt 0x0
	v_cmp_eq_u64_e32 vcc_lo, 0, v[26:27]
	s_cbranch_vccnz .LBB0_204
; %bb.203:                              ;   in Loop: Header=BB0_62 Depth=5
	global_load_b32 v18, v[18:19], off offset:24
	s_wait_xcnt 0x0
	v_mov_b32_e32 v19, v4
	s_wait_loadcnt 0x0
	v_readfirstlane_b32 s14, v18
	global_wb scope:SCOPE_SYS
	s_wait_storecnt 0x0
	global_store_b64 v[26:27], v[18:19], off scope:SCOPE_SYS
	s_and_b32 m0, s14, 0xffffff
	s_sendmsg sendmsg(MSG_INTERRUPT)
.LBB0_204:                              ;   in Loop: Header=BB0_62 Depth=5
	s_wait_xcnt 0x0
	s_or_b32 exec_lo, exec_lo, s12
	v_mov_b32_e32 v11, v4
	s_delay_alu instid0(VALU_DEP_1)
	v_add_nc_u64_e32 v[10:11], v[80:81], v[10:11]
.LBB0_205:                              ;   Parent Loop BB0_3 Depth=1
                                        ;     Parent Loop BB0_6 Depth=2
                                        ;       Parent Loop BB0_11 Depth=3
                                        ;         Parent Loop BB0_37 Depth=4
                                        ;           Parent Loop BB0_62 Depth=5
                                        ; =>          This Inner Loop Header: Depth=6
	v_mov_b32_e32 v5, 1
	s_and_saveexec_b32 s12, s7
	s_cbranch_execz .LBB0_207
; %bb.206:                              ;   in Loop: Header=BB0_205 Depth=6
	global_load_b32 v5, v[14:15], off offset:20 scope:SCOPE_SYS
	s_wait_loadcnt 0x0
	global_inv scope:SCOPE_SYS
	v_and_b32_e32 v5, 1, v5
.LBB0_207:                              ;   in Loop: Header=BB0_205 Depth=6
	s_wait_xcnt 0x0
	s_or_b32 exec_lo, exec_lo, s12
	s_delay_alu instid0(VALU_DEP_1)
	v_readfirstlane_b32 s12, v5
	s_cmp_eq_u32 s12, 0
	s_cbranch_scc1 .LBB0_209
; %bb.208:                              ;   in Loop: Header=BB0_205 Depth=6
	s_mov_b32 s12, 0
	s_sleep 1
	s_branch .LBB0_210
.LBB0_209:                              ;   in Loop: Header=BB0_205 Depth=6
	s_mov_b32 s12, -1
.LBB0_210:                              ;   in Loop: Header=BB0_205 Depth=6
	s_delay_alu instid0(SALU_CYCLE_1)
	s_and_not1_b32 vcc_lo, exec_lo, s12
	s_cbranch_vccnz .LBB0_205
; %bb.211:                              ;   in Loop: Header=BB0_62 Depth=5
	global_load_b64 v[10:11], v[10:11], off
	s_wait_xcnt 0x0
	s_and_saveexec_b32 s12, s7
	s_cbranch_execz .LBB0_215
; %bb.212:                              ;   in Loop: Header=BB0_62 Depth=5
	s_clause 0x2
	global_load_b64 v[14:15], v4, s[10:11] offset:40
	global_load_b64 v[98:99], v4, s[10:11] offset:24 scope:SCOPE_SYS
	global_load_b64 v[18:19], v4, s[10:11]
	s_wait_loadcnt 0x2
	v_readfirstlane_b32 s58, v14
	v_readfirstlane_b32 s59, v15
	s_add_nc_u64 s[14:15], s[58:59], 1
	s_delay_alu instid0(SALU_CYCLE_1) | instskip(NEXT) | instid1(SALU_CYCLE_1)
	s_add_nc_u64 s[22:23], s[14:15], s[22:23]
	s_cmp_eq_u64 s[22:23], 0
	s_cselect_b32 s15, s15, s23
	s_cselect_b32 s14, s14, s22
	s_delay_alu instid0(SALU_CYCLE_1) | instskip(SKIP_1) | instid1(SALU_CYCLE_1)
	v_dual_mov_b32 v97, s15 :: v_dual_mov_b32 v96, s14
	s_and_b64 s[22:23], s[14:15], s[58:59]
	s_mul_u64 s[22:23], s[22:23], 24
	s_wait_loadcnt 0x0
	v_add_nc_u64_e32 v[14:15], s[22:23], v[18:19]
	global_store_b64 v[14:15], v[98:99], off
	global_wb scope:SCOPE_SYS
	s_wait_storecnt 0x0
	s_wait_xcnt 0x0
	global_atomic_cmpswap_b64 v[28:29], v4, v[96:99], s[10:11] offset:24 th:TH_ATOMIC_RETURN scope:SCOPE_SYS
	s_wait_loadcnt 0x0
	v_cmp_ne_u64_e32 vcc_lo, v[28:29], v[98:99]
	s_and_b32 exec_lo, exec_lo, vcc_lo
	s_cbranch_execz .LBB0_215
; %bb.213:                              ;   in Loop: Header=BB0_62 Depth=5
	s_mov_b32 s7, 0
.LBB0_214:                              ;   Parent Loop BB0_3 Depth=1
                                        ;     Parent Loop BB0_6 Depth=2
                                        ;       Parent Loop BB0_11 Depth=3
                                        ;         Parent Loop BB0_37 Depth=4
                                        ;           Parent Loop BB0_62 Depth=5
                                        ; =>          This Inner Loop Header: Depth=6
	v_dual_mov_b32 v26, s14 :: v_dual_mov_b32 v27, s15
	s_sleep 1
	global_store_b64 v[14:15], v[28:29], off
	global_wb scope:SCOPE_SYS
	s_wait_storecnt 0x0
	s_wait_xcnt 0x0
	global_atomic_cmpswap_b64 v[18:19], v4, v[26:29], s[10:11] offset:24 th:TH_ATOMIC_RETURN scope:SCOPE_SYS
	s_wait_loadcnt 0x0
	v_cmp_eq_u64_e32 vcc_lo, v[18:19], v[28:29]
	v_mov_b64_e32 v[28:29], v[18:19]
	s_or_b32 s7, vcc_lo, s7
	s_delay_alu instid0(SALU_CYCLE_1)
	s_and_not1_b32 exec_lo, exec_lo, s7
	s_cbranch_execnz .LBB0_214
.LBB0_215:                              ;   in Loop: Header=BB0_62 Depth=5
	s_or_b32 exec_lo, exec_lo, s12
.LBB0_216:                              ;   in Loop: Header=BB0_62 Depth=5
	s_delay_alu instid0(SALU_CYCLE_1)
	s_or_b32 exec_lo, exec_lo, s25
.LBB0_217:                              ;   in Loop: Header=BB0_62 Depth=5
	s_delay_alu instid0(SALU_CYCLE_1) | instskip(SKIP_1) | instid1(VALU_DEP_1)
	s_or_b32 exec_lo, exec_lo, s24
	s_wait_loadcnt 0x0
	v_readfirstlane_b32 s10, v10
	s_delay_alu instid0(VALU_DEP_2)
	v_readfirstlane_b32 s11, v11
	s_cmp_eq_u64 s[10:11], 0
	s_cbranch_scc1 .LBB0_288
; %bb.218:                              ;   in Loop: Header=BB0_62 Depth=5
	global_load_b32 v5, v[64:65], off offset:56
	v_mbcnt_lo_u32_b32 v11, exec_lo, 0
	s_bcnt1_i32_b32 s7, exec_lo
	s_wait_loadcnt 0x0
	v_add_nc_u32_e32 v2, 31, v5
	s_delay_alu instid0(VALU_DEP_1) | instskip(SKIP_2) | instid1(SALU_CYCLE_1)
	v_lshrrev_b32_e32 v10, 5, v2
	s_wait_xcnt 0x0
	s_and_saveexec_b32 s12, s5
	s_xor_b32 s14, exec_lo, s12
	s_cbranch_execz .LBB0_226
; %bb.219:                              ;   in Loop: Header=BB0_62 Depth=5
	global_load_b32 v14, v[64:65], off offset:76
	s_mov_b32 s15, exec_lo
	s_wait_xcnt 0x0
	v_cmpx_lt_u32_e64 v11, v10
	s_cbranch_execz .LBB0_222
; %bb.220:                              ;   in Loop: Header=BB0_62 Depth=5
	v_dual_mov_b32 v3, v4 :: v_dual_lshlrev_b32 v2, 2, v11
	v_mov_b32_e32 v15, v11
	s_lshl_b32 s12, s7, 2
	s_mov_b32 s22, 0
	s_delay_alu instid0(VALU_DEP_2) | instskip(NEXT) | instid1(VALU_DEP_1)
	v_add_nc_u64_e32 v[2:3], s[10:11], v[2:3]
	v_add_nc_u64_e32 v[2:3], 16, v[2:3]
.LBB0_221:                              ;   Parent Loop BB0_3 Depth=1
                                        ;     Parent Loop BB0_6 Depth=2
                                        ;       Parent Loop BB0_11 Depth=3
                                        ;         Parent Loop BB0_37 Depth=4
                                        ;           Parent Loop BB0_62 Depth=5
                                        ; =>          This Inner Loop Header: Depth=6
	v_add_nc_u32_e32 v15, s7, v15
	global_store_b32 v[2:3], v4, off
	s_wait_xcnt 0x0
	v_add_nc_u64_e32 v[2:3], s[12:13], v[2:3]
	v_cmp_ge_u32_e32 vcc_lo, v15, v10
	s_or_b32 s22, vcc_lo, s22
	s_delay_alu instid0(SALU_CYCLE_1)
	s_and_not1_b32 exec_lo, exec_lo, s22
	s_cbranch_execnz .LBB0_221
.LBB0_222:                              ;   in Loop: Header=BB0_62 Depth=5
	s_or_b32 exec_lo, exec_lo, s15
	global_load_b32 v2, v[64:65], off offset:72
	s_mov_b32 s12, exec_lo
	s_wait_loadcnt 0x0
	v_mad_u32 v2, v14, v11, v2
	s_wait_xcnt 0x0
	s_delay_alu instid0(VALU_DEP_1)
	v_cmpx_lt_u32_e64 v2, v5
	s_cbranch_execz .LBB0_225
; %bb.223:                              ;   in Loop: Header=BB0_62 Depth=5
	v_mul_lo_u32 v3, v14, s7
	s_mov_b32 s15, 0
.LBB0_224:                              ;   Parent Loop BB0_3 Depth=1
                                        ;     Parent Loop BB0_6 Depth=2
                                        ;       Parent Loop BB0_11 Depth=3
                                        ;         Parent Loop BB0_37 Depth=4
                                        ;           Parent Loop BB0_62 Depth=5
                                        ; =>          This Inner Loop Header: Depth=6
	v_lshlrev_b32_e64 v14, v2, 1
	s_delay_alu instid0(VALU_DEP_2) | instskip(NEXT) | instid1(VALU_DEP_1)
	v_dual_lshrrev_b32 v15, 3, v2 :: v_dual_add_nc_u32 v2, v2, v3
	v_and_b32_e32 v15, 0x1ffffffc, v15
	s_delay_alu instid0(VALU_DEP_2)
	v_cmp_ge_u32_e32 vcc_lo, v2, v5
	global_store_b32 v15, v14, s[10:11] offset:16
	s_or_b32 s15, vcc_lo, s15
	s_wait_xcnt 0x0
	s_and_not1_b32 exec_lo, exec_lo, s15
	s_cbranch_execnz .LBB0_224
.LBB0_225:                              ;   in Loop: Header=BB0_62 Depth=5
	s_or_b32 exec_lo, exec_lo, s12
.LBB0_226:                              ;   in Loop: Header=BB0_62 Depth=5
	s_and_not1_saveexec_b32 s14, s14
	s_cbranch_execz .LBB0_231
; %bb.227:                              ;   in Loop: Header=BB0_62 Depth=5
	s_mov_b32 s15, exec_lo
	v_cmpx_lt_u32_e64 v11, v10
	s_cbranch_execz .LBB0_230
; %bb.228:                              ;   in Loop: Header=BB0_62 Depth=5
	global_load_b32 v14, v[64:65], off offset:80
	v_dual_mov_b32 v3, v4 :: v_dual_lshlrev_b32 v2, 2, v11
	v_mov_b32_e32 v15, v11
	s_lshl_b32 s12, s7, 2
	s_mov_b32 s22, 0
	s_delay_alu instid0(VALU_DEP_2) | instskip(NEXT) | instid1(VALU_DEP_1)
	v_add_nc_u64_e32 v[2:3], s[10:11], v[2:3]
	v_add_nc_u64_e32 v[2:3], 16, v[2:3]
.LBB0_229:                              ;   Parent Loop BB0_3 Depth=1
                                        ;     Parent Loop BB0_6 Depth=2
                                        ;       Parent Loop BB0_11 Depth=3
                                        ;         Parent Loop BB0_37 Depth=4
                                        ;           Parent Loop BB0_62 Depth=5
                                        ; =>          This Inner Loop Header: Depth=6
	v_add_nc_u32_e32 v15, s7, v15
	s_wait_loadcnt 0x0
	global_store_b32 v[2:3], v14, off
	s_wait_xcnt 0x0
	v_add_nc_u64_e32 v[2:3], s[12:13], v[2:3]
	v_cmp_ge_u32_e32 vcc_lo, v15, v10
	s_or_b32 s22, vcc_lo, s22
	s_delay_alu instid0(SALU_CYCLE_1)
	s_and_not1_b32 exec_lo, exec_lo, s22
	s_cbranch_execnz .LBB0_229
.LBB0_230:                              ;   in Loop: Header=BB0_62 Depth=5
	s_or_b32 exec_lo, exec_lo, s15
.LBB0_231:                              ;   in Loop: Header=BB0_62 Depth=5
	s_delay_alu instid0(SALU_CYCLE_1) | instskip(NEXT) | instid1(SALU_CYCLE_1)
	s_or_b32 exec_lo, exec_lo, s14
	s_mov_b32 s7, exec_lo
	v_cmpx_eq_u32_e32 0, v11
	s_cbranch_execz .LBB0_235
; %bb.232:                              ;   in Loop: Header=BB0_62 Depth=5
	s_and_saveexec_b32 s12, s3
	s_cbranch_execz .LBB0_234
; %bb.233:                              ;   in Loop: Header=BB0_62 Depth=5
	v_add_nc_u32_e32 v2, -1, v10
	global_load_b32 v3, v2, s[10:11] offset:16 scale_offset
	s_wait_loadcnt 0x0
	v_lshl_or_b32 v3, -1, v5, v3
	global_store_b32 v2, v3, s[10:11] offset:16 scale_offset
.LBB0_234:                              ;   in Loop: Header=BB0_62 Depth=5
	s_wait_xcnt 0x0
	s_or_b32 exec_lo, exec_lo, s12
	global_store_b128 v4, v[22:25], s[10:11]
.LBB0_235:                              ;   in Loop: Header=BB0_62 Depth=5
	s_wait_xcnt 0x0
	s_or_b32 exec_lo, exec_lo, s7
.LBB0_236:                              ;   Parent Loop BB0_3 Depth=1
                                        ;     Parent Loop BB0_6 Depth=2
                                        ;       Parent Loop BB0_11 Depth=3
                                        ;         Parent Loop BB0_37 Depth=4
                                        ;           Parent Loop BB0_62 Depth=5
                                        ; =>          This Inner Loop Header: Depth=6
	v_mov_b32_e32 v2, s47
	s_and_saveexec_b32 s7, s6
	s_cbranch_execz .LBB0_238
; %bb.237:                              ;   in Loop: Header=BB0_236 Depth=6
	global_load_b32 v2, v[68:69], off offset:2304 scope:SCOPE_DEV
.LBB0_238:                              ;   in Loop: Header=BB0_236 Depth=6
	s_wait_xcnt 0x0
	s_or_b32 exec_lo, exec_lo, s7
	s_wait_loadcnt 0x0
	v_readfirstlane_b32 s47, v2
	s_cmp_eq_u32 s47, 0x10100
	s_cbranch_scc1 .LBB0_252
; %bb.239:                              ;   in Loop: Header=BB0_236 Depth=6
	v_mov_b32_e32 v2, s56
	s_and_saveexec_b32 s7, s6
	s_cbranch_execz .LBB0_241
; %bb.240:                              ;   in Loop: Header=BB0_236 Depth=6
	global_load_b32 v2, v[68:69], off offset:4352 scope:SCOPE_DEV
.LBB0_241:                              ;   in Loop: Header=BB0_236 Depth=6
	s_wait_xcnt 0x0
	s_or_b32 exec_lo, exec_lo, s7
	s_wait_loadcnt 0x0
	v_readfirstlane_b32 s56, v2
	s_mov_b32 s7, -1
	s_mov_b32 s12, -1
                                        ; implicit-def: $sgpr14_sgpr15
	s_cmp_lg_u32 s47, s56
	s_cbranch_scc0 .LBB0_251
; %bb.242:                              ;   in Loop: Header=BB0_236 Depth=6
	v_dual_mov_b32 v2, 0 :: v_dual_mov_b32 v3, 0
	s_and_saveexec_b32 s7, s6
	s_cbranch_execz .LBB0_248
; %bb.243:                              ;   in Loop: Header=BB0_236 Depth=6
	v_mov_b64_e32 v[2:3], v[66:67]
	s_cmp_lt_u32 s47, 0x100
	s_mov_b32 s12, s47
	s_cbranch_scc1 .LBB0_245
; %bb.244:                              ;   in Loop: Header=BB0_236 Depth=6
	s_add_co_i32 s12, s47, 0xffffff00
	s_delay_alu instid0(SALU_CYCLE_1) | instskip(NEXT) | instid1(SALU_CYCLE_1)
	s_lshr_b32 s12, s12, 8
	v_mad_nc_u64_u32 v[2:3], s12, 24, v[54:55]
	s_and_b32 s12, s47, 0xff
	global_load_b64 v[2:3], v[2:3], off offset:22528 scope:SCOPE_DEV
.LBB0_245:                              ;   in Loop: Header=BB0_236 Depth=6
	s_wait_loadcnt 0x0
	s_delay_alu instid0(VALU_DEP_1)
	v_mad_nc_u64_u32 v[10:11], s12, 24, v[2:3]
	s_wait_xcnt 0x0
	v_dual_mov_b32 v14, s47 :: v_dual_mov_b32 v2, s10
	v_dual_mov_b32 v3, s11 :: v_dual_mov_b32 v5, v4
	global_store_b32 v4, v14, s[10:11] offset:4
	s_wait_xcnt 0x0
	global_atomic_cmpswap_b64 v[2:3], v[10:11], v[2:5], off offset:8 th:TH_ATOMIC_RETURN scope:SCOPE_DEV
	s_wait_loadcnt 0x0
	v_cmp_eq_u64_e32 vcc_lo, 0, v[2:3]
	s_wait_xcnt 0x0
	v_dual_mov_b32 v2, 0 :: v_dual_mov_b32 v3, 0
	s_and_saveexec_b32 s12, vcc_lo
	s_cbranch_execz .LBB0_247
; %bb.246:                              ;   in Loop: Header=BB0_236 Depth=6
	global_wb scope:SCOPE_DEV
	s_wait_storecnt 0x0
	global_atomic_add_u32 v[68:69], v83, off offset:2304 scope:SCOPE_DEV
	v_dual_mov_b32 v2, v11 :: v_dual_mov_b32 v3, v10
.LBB0_247:                              ;   in Loop: Header=BB0_236 Depth=6
	s_wait_xcnt 0x0
	s_or_b32 exec_lo, exec_lo, s12
.LBB0_248:                              ;   in Loop: Header=BB0_236 Depth=6
	s_delay_alu instid0(SALU_CYCLE_1) | instskip(NEXT) | instid1(VALU_DEP_1)
	s_or_b32 exec_lo, exec_lo, s7
	v_readfirstlane_b32 s14, v3
	v_readfirstlane_b32 s15, v2
	s_mov_b32 s12, -1
	s_cmp_lg_u64 s[14:15], 0
	s_cbranch_scc1 .LBB0_250
; %bb.249:                              ;   in Loop: Header=BB0_236 Depth=6
	s_mov_b32 s12, 0
	s_sleep 2
.LBB0_250:                              ;   in Loop: Header=BB0_236 Depth=6
	s_mov_b32 s7, 0
.LBB0_251:                              ;   in Loop: Header=BB0_236 Depth=6
	s_mov_b32 s22, 0
	s_branch .LBB0_253
.LBB0_252:                              ;   in Loop: Header=BB0_236 Depth=6
	s_mov_b32 s22, -1
	s_mov_b32 s7, 0
	s_mov_b32 s12, -1
                                        ; implicit-def: $sgpr56
                                        ; implicit-def: $sgpr14_sgpr15
.LBB0_253:                              ;   in Loop: Header=BB0_236 Depth=6
	s_delay_alu instid0(SALU_CYCLE_1)
	s_and_b32 vcc_lo, exec_lo, s12
	s_cbranch_vccz .LBB0_236
; %bb.254:                              ;   in Loop: Header=BB0_62 Depth=5
	s_and_b32 vcc_lo, exec_lo, s22
	s_cbranch_vccnz .LBB0_287
; %bb.255:                              ;   in Loop: Header=BB0_62 Depth=5
	s_xor_b32 s7, s7, -1
	s_delay_alu instid0(SALU_CYCLE_1)
	s_and_b32 vcc_lo, exec_lo, s7
	s_mov_b32 s7, -1
	s_cbranch_vccz .LBB0_257
; %bb.256:                              ;   in Loop: Header=BB0_62 Depth=5
	s_mov_b32 s7, 0
.LBB0_257:                              ;   in Loop: Header=BB0_62 Depth=5
	v_mov_b64_e32 v[2:3], s[14:15]
	s_and_not1_b32 vcc_lo, exec_lo, s7
	s_mov_b32 s7, 0
	s_cbranch_vccnz .LBB0_289
; %bb.258:                              ;   in Loop: Header=BB0_62 Depth=5
	s_and_saveexec_b32 s47, s6
	s_cbranch_execz .LBB0_286
; %bb.259:                              ;   in Loop: Header=BB0_62 Depth=5
	s_load_b64 s[22:23], s[8:9], 0x50
	v_readfirstlane_b32 s7, v82
	v_mov_b64_e32 v[2:3], 0
	s_delay_alu instid0(VALU_DEP_2)
	v_cmp_eq_u32_e64 s7, s7, v82
	s_and_saveexec_b32 s12, s7
	s_cbranch_execz .LBB0_265
; %bb.260:                              ;   in Loop: Header=BB0_62 Depth=5
	s_wait_kmcnt 0x0
	global_load_b64 v[28:29], v4, s[22:23] offset:24 scope:SCOPE_SYS
	s_wait_loadcnt 0x0
	global_inv scope:SCOPE_SYS
	s_clause 0x1
	global_load_b64 v[2:3], v4, s[22:23] offset:40
	global_load_b64 v[10:11], v4, s[22:23]
	s_mov_b32 s14, exec_lo
	s_wait_loadcnt 0x1
	v_and_b32_e32 v2, v2, v28
	v_and_b32_e32 v3, v3, v29
	s_delay_alu instid0(VALU_DEP_1) | instskip(SKIP_1) | instid1(VALU_DEP_1)
	v_mul_u64_e32 v[2:3], 24, v[2:3]
	s_wait_loadcnt 0x0
	v_add_nc_u64_e32 v[2:3], v[10:11], v[2:3]
	global_load_b64 v[26:27], v[2:3], off scope:SCOPE_SYS
	s_wait_xcnt 0x0
	s_wait_loadcnt 0x0
	global_atomic_cmpswap_b64 v[2:3], v4, v[26:29], s[22:23] offset:24 th:TH_ATOMIC_RETURN scope:SCOPE_SYS
	s_wait_loadcnt 0x0
	global_inv scope:SCOPE_SYS
	s_wait_xcnt 0x0
	v_cmpx_ne_u64_e64 v[2:3], v[28:29]
	s_cbranch_execz .LBB0_264
; %bb.261:                              ;   in Loop: Header=BB0_62 Depth=5
	s_mov_b32 s15, 0
.LBB0_262:                              ;   Parent Loop BB0_3 Depth=1
                                        ;     Parent Loop BB0_6 Depth=2
                                        ;       Parent Loop BB0_11 Depth=3
                                        ;         Parent Loop BB0_37 Depth=4
                                        ;           Parent Loop BB0_62 Depth=5
                                        ; =>          This Inner Loop Header: Depth=6
	s_sleep 1
	s_clause 0x1
	global_load_b64 v[10:11], v4, s[22:23] offset:40
	global_load_b64 v[14:15], v4, s[22:23]
	v_mov_b64_e32 v[28:29], v[2:3]
	s_wait_loadcnt 0x1
	s_delay_alu instid0(VALU_DEP_1) | instskip(NEXT) | instid1(VALU_DEP_2)
	v_and_b32_e32 v2, v10, v28
	v_and_b32_e32 v5, v11, v29
	s_wait_loadcnt 0x0
	s_delay_alu instid0(VALU_DEP_2) | instskip(NEXT) | instid1(VALU_DEP_1)
	v_mad_nc_u64_u32 v[2:3], v2, 24, v[14:15]
	v_mad_u32 v3, v5, 24, v3
	global_load_b64 v[26:27], v[2:3], off scope:SCOPE_SYS
	s_wait_xcnt 0x0
	s_wait_loadcnt 0x0
	global_atomic_cmpswap_b64 v[2:3], v4, v[26:29], s[22:23] offset:24 th:TH_ATOMIC_RETURN scope:SCOPE_SYS
	s_wait_loadcnt 0x0
	global_inv scope:SCOPE_SYS
	v_cmp_eq_u64_e32 vcc_lo, v[2:3], v[28:29]
	s_or_b32 s15, vcc_lo, s15
	s_wait_xcnt 0x0
	s_and_not1_b32 exec_lo, exec_lo, s15
	s_cbranch_execnz .LBB0_262
; %bb.263:                              ;   in Loop: Header=BB0_62 Depth=5
	s_or_b32 exec_lo, exec_lo, s15
.LBB0_264:                              ;   in Loop: Header=BB0_62 Depth=5
	s_delay_alu instid0(SALU_CYCLE_1)
	s_or_b32 exec_lo, exec_lo, s14
.LBB0_265:                              ;   in Loop: Header=BB0_62 Depth=5
	s_delay_alu instid0(SALU_CYCLE_1)
	s_or_b32 exec_lo, exec_lo, s12
	s_wait_kmcnt 0x0
	s_clause 0x1
	global_load_b64 v[10:11], v4, s[22:23] offset:40
	global_load_b128 v[26:29], v4, s[22:23]
	v_readfirstlane_b32 s24, v2
	v_readfirstlane_b32 s25, v3
	s_mov_b32 s12, exec_lo
	s_wait_loadcnt 0x1
	v_and_b32_e32 v14, s24, v10
	v_and_b32_e32 v15, s25, v11
	s_delay_alu instid0(VALU_DEP_1) | instskip(SKIP_1) | instid1(VALU_DEP_1)
	v_mul_u64_e32 v[2:3], 24, v[14:15]
	s_wait_loadcnt 0x0
	v_add_nc_u64_e32 v[2:3], v[26:27], v[2:3]
	s_wait_xcnt 0x0
	s_and_saveexec_b32 s14, s7
	s_cbranch_execz .LBB0_267
; %bb.266:                              ;   in Loop: Header=BB0_62 Depth=5
	v_dual_mov_b32 v10, s12 :: v_dual_mov_b32 v11, v4
	global_store_b128 v[2:3], v[10:13], off offset:8
.LBB0_267:                              ;   in Loop: Header=BB0_62 Depth=5
	s_wait_xcnt 0x0
	s_or_b32 exec_lo, exec_lo, s14
	v_lshlrev_b64_e32 v[10:11], 12, v[14:15]
	s_mov_b32 s14, s13
	s_mov_b32 s15, s13
	;; [unrolled: 1-line block ×3, first 2 shown]
	v_mov_b64_e32 v[14:15], s[10:11]
	v_mov_b64_e32 v[98:99], s[14:15]
	;; [unrolled: 1-line block ×3, first 2 shown]
	v_add_nc_u64_e32 v[10:11], v[28:29], v[10:11]
	v_lshlrev_b32_e32 v5, 6, v82
	s_delay_alu instid0(VALU_DEP_2) | instskip(NEXT) | instid1(VALU_DEP_3)
	v_readfirstlane_b32 s10, v10
	v_readfirstlane_b32 s11, v11
	s_clause 0x4
	global_store_b64 v5, v[14:15], s[10:11]
	global_store_b128 v5, v[96:99], s[10:11] offset:8
	global_store_b128 v5, v[96:99], s[10:11] offset:24
	;; [unrolled: 1-line block ×3, first 2 shown]
	global_store_b64 v5, v[34:35], s[10:11] offset:56
	s_wait_xcnt 0x0
	s_and_saveexec_b32 s10, s7
	s_cbranch_execz .LBB0_275
; %bb.268:                              ;   in Loop: Header=BB0_62 Depth=5
	s_clause 0x1
	global_load_b64 v[98:99], v4, s[22:23] offset:32 scope:SCOPE_SYS
	global_load_b64 v[10:11], v4, s[22:23] offset:40
	s_mov_b32 s11, exec_lo
	v_dual_mov_b32 v96, s24 :: v_dual_mov_b32 v97, s25
	s_wait_loadcnt 0x0
	v_and_b32_e32 v11, s25, v11
	v_and_b32_e32 v10, s24, v10
	s_delay_alu instid0(VALU_DEP_1) | instskip(NEXT) | instid1(VALU_DEP_1)
	v_mul_u64_e32 v[10:11], 24, v[10:11]
	v_add_nc_u64_e32 v[10:11], v[26:27], v[10:11]
	global_store_b64 v[10:11], v[98:99], off
	global_wb scope:SCOPE_SYS
	s_wait_storecnt 0x0
	s_wait_xcnt 0x0
	global_atomic_cmpswap_b64 v[28:29], v4, v[96:99], s[22:23] offset:32 th:TH_ATOMIC_RETURN scope:SCOPE_SYS
	s_wait_loadcnt 0x0
	v_cmpx_ne_u64_e64 v[28:29], v[98:99]
	s_cbranch_execz .LBB0_271
; %bb.269:                              ;   in Loop: Header=BB0_62 Depth=5
	s_mov_b32 s12, 0
.LBB0_270:                              ;   Parent Loop BB0_3 Depth=1
                                        ;     Parent Loop BB0_6 Depth=2
                                        ;       Parent Loop BB0_11 Depth=3
                                        ;         Parent Loop BB0_37 Depth=4
                                        ;           Parent Loop BB0_62 Depth=5
                                        ; =>          This Inner Loop Header: Depth=6
	v_dual_mov_b32 v26, s24 :: v_dual_mov_b32 v27, s25
	s_sleep 1
	global_store_b64 v[10:11], v[28:29], off
	global_wb scope:SCOPE_SYS
	s_wait_storecnt 0x0
	s_wait_xcnt 0x0
	global_atomic_cmpswap_b64 v[14:15], v4, v[26:29], s[22:23] offset:32 th:TH_ATOMIC_RETURN scope:SCOPE_SYS
	s_wait_loadcnt 0x0
	v_cmp_eq_u64_e32 vcc_lo, v[14:15], v[28:29]
	v_mov_b64_e32 v[28:29], v[14:15]
	s_or_b32 s12, vcc_lo, s12
	s_delay_alu instid0(SALU_CYCLE_1)
	s_and_not1_b32 exec_lo, exec_lo, s12
	s_cbranch_execnz .LBB0_270
.LBB0_271:                              ;   in Loop: Header=BB0_62 Depth=5
	s_or_b32 exec_lo, exec_lo, s11
	global_load_b64 v[10:11], v4, s[22:23] offset:16
	s_mov_b32 s12, exec_lo
	s_mov_b32 s11, exec_lo
	v_mbcnt_lo_u32_b32 v5, s12, 0
	s_wait_xcnt 0x0
	s_delay_alu instid0(VALU_DEP_1)
	v_cmpx_eq_u32_e32 0, v5
	s_cbranch_execz .LBB0_273
; %bb.272:                              ;   in Loop: Header=BB0_62 Depth=5
	s_bcnt1_i32_b32 s12, s12
	s_delay_alu instid0(SALU_CYCLE_1)
	v_dual_mov_b32 v15, v4 :: v_dual_mov_b32 v14, s12
	global_wb scope:SCOPE_SYS
	s_wait_loadcnt 0x0
	s_wait_storecnt 0x0
	global_atomic_add_u64 v[10:11], v[14:15], off offset:8 scope:SCOPE_SYS
.LBB0_273:                              ;   in Loop: Header=BB0_62 Depth=5
	s_wait_xcnt 0x0
	s_or_b32 exec_lo, exec_lo, s11
	s_wait_loadcnt 0x0
	global_load_b64 v[14:15], v[10:11], off offset:16
	s_wait_loadcnt 0x0
	v_cmp_eq_u64_e32 vcc_lo, 0, v[14:15]
	s_cbranch_vccnz .LBB0_275
; %bb.274:                              ;   in Loop: Header=BB0_62 Depth=5
	global_load_b32 v10, v[10:11], off offset:24
	s_wait_xcnt 0x0
	v_mov_b32_e32 v11, v4
	s_wait_loadcnt 0x0
	v_readfirstlane_b32 s11, v10
	global_wb scope:SCOPE_SYS
	s_wait_storecnt 0x0
	global_store_b64 v[14:15], v[10:11], off scope:SCOPE_SYS
	s_and_b32 m0, s11, 0xffffff
	s_sendmsg sendmsg(MSG_INTERRUPT)
.LBB0_275:                              ;   in Loop: Header=BB0_62 Depth=5
	s_wait_xcnt 0x0
	s_or_b32 exec_lo, exec_lo, s10
.LBB0_276:                              ;   Parent Loop BB0_3 Depth=1
                                        ;     Parent Loop BB0_6 Depth=2
                                        ;       Parent Loop BB0_11 Depth=3
                                        ;         Parent Loop BB0_37 Depth=4
                                        ;           Parent Loop BB0_62 Depth=5
                                        ; =>          This Inner Loop Header: Depth=6
	v_mov_b32_e32 v5, 1
	s_and_saveexec_b32 s10, s7
	s_cbranch_execz .LBB0_278
; %bb.277:                              ;   in Loop: Header=BB0_276 Depth=6
	global_load_b32 v5, v[2:3], off offset:20 scope:SCOPE_SYS
	s_wait_loadcnt 0x0
	global_inv scope:SCOPE_SYS
	v_and_b32_e32 v5, 1, v5
.LBB0_278:                              ;   in Loop: Header=BB0_276 Depth=6
	s_wait_xcnt 0x0
	s_or_b32 exec_lo, exec_lo, s10
	s_delay_alu instid0(VALU_DEP_1)
	v_readfirstlane_b32 s10, v5
	s_cmp_eq_u32 s10, 0
	s_cbranch_scc1 .LBB0_280
; %bb.279:                              ;   in Loop: Header=BB0_276 Depth=6
	s_mov_b32 s10, 0
	s_sleep 1
	s_branch .LBB0_281
.LBB0_280:                              ;   in Loop: Header=BB0_276 Depth=6
	s_mov_b32 s10, -1
.LBB0_281:                              ;   in Loop: Header=BB0_276 Depth=6
	s_delay_alu instid0(SALU_CYCLE_1)
	s_and_not1_b32 vcc_lo, exec_lo, s10
	s_cbranch_vccnz .LBB0_276
; %bb.282:                              ;   in Loop: Header=BB0_62 Depth=5
	s_and_b32 exec_lo, exec_lo, s7
	s_cbranch_execz .LBB0_286
; %bb.283:                              ;   in Loop: Header=BB0_62 Depth=5
	s_clause 0x2
	global_load_b64 v[2:3], v4, s[22:23] offset:40
	global_load_b64 v[98:99], v4, s[22:23] offset:24 scope:SCOPE_SYS
	global_load_b64 v[10:11], v4, s[22:23]
	s_wait_loadcnt 0x2
	v_readfirstlane_b32 s14, v2
	v_readfirstlane_b32 s15, v3
	s_add_nc_u64 s[10:11], s[14:15], 1
	s_delay_alu instid0(SALU_CYCLE_1) | instskip(NEXT) | instid1(SALU_CYCLE_1)
	s_add_nc_u64 s[24:25], s[10:11], s[24:25]
	s_cmp_eq_u64 s[24:25], 0
	s_cselect_b32 s11, s11, s25
	s_cselect_b32 s10, s10, s24
	s_delay_alu instid0(SALU_CYCLE_1) | instskip(SKIP_1) | instid1(SALU_CYCLE_1)
	v_dual_mov_b32 v97, s11 :: v_dual_mov_b32 v96, s10
	s_and_b64 s[14:15], s[10:11], s[14:15]
	s_mul_u64 s[14:15], s[14:15], 24
	s_wait_loadcnt 0x0
	v_add_nc_u64_e32 v[2:3], s[14:15], v[10:11]
	global_store_b64 v[2:3], v[98:99], off
	global_wb scope:SCOPE_SYS
	s_wait_storecnt 0x0
	s_wait_xcnt 0x0
	global_atomic_cmpswap_b64 v[28:29], v4, v[96:99], s[22:23] offset:24 th:TH_ATOMIC_RETURN scope:SCOPE_SYS
	s_wait_loadcnt 0x0
	v_cmp_ne_u64_e32 vcc_lo, v[28:29], v[98:99]
	s_and_b32 exec_lo, exec_lo, vcc_lo
	s_cbranch_execz .LBB0_286
; %bb.284:                              ;   in Loop: Header=BB0_62 Depth=5
	s_mov_b32 s7, 0
.LBB0_285:                              ;   Parent Loop BB0_3 Depth=1
                                        ;     Parent Loop BB0_6 Depth=2
                                        ;       Parent Loop BB0_11 Depth=3
                                        ;         Parent Loop BB0_37 Depth=4
                                        ;           Parent Loop BB0_62 Depth=5
                                        ; =>          This Inner Loop Header: Depth=6
	v_dual_mov_b32 v26, s10 :: v_dual_mov_b32 v27, s11
	s_sleep 1
	global_store_b64 v[2:3], v[28:29], off
	global_wb scope:SCOPE_SYS
	s_wait_storecnt 0x0
	s_wait_xcnt 0x0
	global_atomic_cmpswap_b64 v[10:11], v4, v[26:29], s[22:23] offset:24 th:TH_ATOMIC_RETURN scope:SCOPE_SYS
	s_wait_loadcnt 0x0
	v_cmp_eq_u64_e32 vcc_lo, v[10:11], v[28:29]
	v_mov_b64_e32 v[28:29], v[10:11]
	s_or_b32 s7, vcc_lo, s7
	s_delay_alu instid0(SALU_CYCLE_1)
	s_and_not1_b32 exec_lo, exec_lo, s7
	s_cbranch_execnz .LBB0_285
.LBB0_286:                              ;   in Loop: Header=BB0_62 Depth=5
	s_or_b32 exec_lo, exec_lo, s47
	v_mov_b64_e32 v[2:3], v[70:71]
	s_mov_b32 s7, -1
	s_branch .LBB0_289
.LBB0_287:                              ;   in Loop: Header=BB0_62 Depth=5
	v_mov_b64_e32 v[2:3], 0
.LBB0_288:                              ;   in Loop: Header=BB0_62 Depth=5
	s_mov_b32 s7, 0
.LBB0_289:                              ;   in Loop: Header=BB0_62 Depth=5
	s_delay_alu instid0(VALU_DEP_1)
	v_mov_b64_e32 v[70:71], v[2:3]
.LBB0_290:                              ;   in Loop: Header=BB0_62 Depth=5
	s_xor_b32 s7, s7, -1
	s_delay_alu instid0(SALU_CYCLE_1)
	s_and_not1_b32 vcc_lo, exec_lo, s7
	s_cbranch_vccnz .LBB0_62
; %bb.291:                              ;   in Loop: Header=BB0_37 Depth=4
	s_delay_alu instid0(VALU_DEP_1)
	v_cmp_ne_u64_e64 s14, 1, v[70:71]
	s_and_b32 vcc_lo, exec_lo, s14
	s_cbranch_vccz .LBB0_294
; %bb.292:                              ;   in Loop: Header=BB0_37 Depth=4
	v_mov_b64_e32 v[52:53], v[70:71]
	s_branch .LBB0_314
.LBB0_293:                              ;   in Loop: Header=BB0_37 Depth=4
                                        ; implicit-def: $sgpr45
	s_branch .LBB0_314
.LBB0_294:                              ;   in Loop: Header=BB0_37 Depth=4
	v_mbcnt_lo_u32_b32 v2, exec_lo, 0
	s_mov_b32 s15, exec_lo
	s_delay_alu instid0(VALU_DEP_1)
	v_cmpx_eq_u32_e32 0, v2
	s_cbranch_execz .LBB0_311
; %bb.295:                              ;   in Loop: Header=BB0_37 Depth=4
	global_load_b64 v[2:3], v[68:69], off offset:6400 scope:SCOPE_DEV
	s_sendmsg_rtn_b64 s[6:7], sendmsg(MSG_RTN_GET_REALTIME)
	s_wait_loadcnt 0x0
	s_wait_kmcnt 0x0
	v_sub_nc_u64_e32 v[2:3], s[6:7], v[2:3]
	s_delay_alu instid0(VALU_DEP_1)
	v_cmp_gt_u64_e32 vcc_lo, 0x4e20, v[2:3]
	s_wait_xcnt 0x0
	s_and_b32 exec_lo, exec_lo, vcc_lo
	s_cbranch_execz .LBB0_311
; %bb.296:                              ;   in Loop: Header=BB0_37 Depth=4
	v_readfirstlane_b32 s6, v2
	s_sendmsg_rtn_b64 s[10:11], sendmsg(MSG_RTN_GET_REALTIME)
	s_sub_co_i32 s12, 0x4e20, s6
	s_wait_kmcnt 0x0
	s_add_nc_u64 s[6:7], s[12:13], s[10:11]
.LBB0_297:                              ;   Parent Loop BB0_3 Depth=1
                                        ;     Parent Loop BB0_6 Depth=2
                                        ;       Parent Loop BB0_11 Depth=3
                                        ;         Parent Loop BB0_37 Depth=4
                                        ; =>        This Inner Loop Header: Depth=5
	s_wait_kmcnt 0x0
	s_add_nc_u64 s[22:23], s[10:11], 0x659
	s_delay_alu instid0(SALU_CYCLE_1)
	v_cmp_le_u64_e64 s12, s[6:7], s[22:23]
	s_and_b32 vcc_lo, exec_lo, s12
	s_cbranch_vccnz .LBB0_300
; %bb.298:                              ;   in Loop: Header=BB0_297 Depth=5
	s_sleep 0x7f
	s_sendmsg_rtn_b64 s[10:11], sendmsg(MSG_RTN_GET_REALTIME)
	s_branch .LBB0_297
.LBB0_299:                              ;   in Loop: Header=BB0_300 Depth=5
	s_sleep 63
	s_sendmsg_rtn_b64 s[10:11], sendmsg(MSG_RTN_GET_REALTIME)
.LBB0_300:                              ;   Parent Loop BB0_3 Depth=1
                                        ;     Parent Loop BB0_6 Depth=2
                                        ;       Parent Loop BB0_11 Depth=3
                                        ;         Parent Loop BB0_37 Depth=4
                                        ; =>        This Inner Loop Header: Depth=5
	s_wait_kmcnt 0x0
	s_add_nc_u64 s[22:23], s[10:11], 0x326
	s_delay_alu instid0(SALU_CYCLE_1)
	v_cmp_le_u64_e64 s12, s[6:7], s[22:23]
	s_and_b32 vcc_lo, exec_lo, s12
	s_cbranch_vccz .LBB0_299
; %bb.301:                              ;   in Loop: Header=BB0_37 Depth=4
	s_add_nc_u64 s[22:23], s[10:11], 0x18c
	s_delay_alu instid0(SALU_CYCLE_1)
	v_cmp_le_u64_e64 s12, s[6:7], s[22:23]
	s_and_b32 vcc_lo, exec_lo, s12
	s_cbranch_vccnz .LBB0_304
.LBB0_302:                              ;   Parent Loop BB0_3 Depth=1
                                        ;     Parent Loop BB0_6 Depth=2
                                        ;       Parent Loop BB0_11 Depth=3
                                        ;         Parent Loop BB0_37 Depth=4
                                        ; =>        This Inner Loop Header: Depth=5
	s_sleep 31
	s_sendmsg_rtn_b64 s[10:11], sendmsg(MSG_RTN_GET_REALTIME)
	s_wait_kmcnt 0x0
	s_add_nc_u64 s[22:23], s[10:11], 0x18c
	s_delay_alu instid0(SALU_CYCLE_1)
	v_cmp_gt_u64_e64 s12, s[6:7], s[22:23]
	s_and_b32 vcc_lo, exec_lo, s12
	s_cbranch_vccnz .LBB0_302
	s_branch .LBB0_304
.LBB0_303:                              ;   in Loop: Header=BB0_304 Depth=5
	s_sleep 15
	s_sendmsg_rtn_b64 s[10:11], sendmsg(MSG_RTN_GET_REALTIME)
.LBB0_304:                              ;   Parent Loop BB0_3 Depth=1
                                        ;     Parent Loop BB0_6 Depth=2
                                        ;       Parent Loop BB0_11 Depth=3
                                        ;         Parent Loop BB0_37 Depth=4
                                        ; =>        This Inner Loop Header: Depth=5
	s_wait_kmcnt 0x0
	s_add_nc_u64 s[22:23], s[10:11], 0xc0
	s_delay_alu instid0(SALU_CYCLE_1)
	v_cmp_le_u64_e64 s12, s[6:7], s[22:23]
	s_and_b32 vcc_lo, exec_lo, s12
	s_cbranch_vccz .LBB0_303
	s_branch .LBB0_306
.LBB0_305:                              ;   in Loop: Header=BB0_306 Depth=5
	s_sleep 7
	s_sendmsg_rtn_b64 s[10:11], sendmsg(MSG_RTN_GET_REALTIME)
.LBB0_306:                              ;   Parent Loop BB0_3 Depth=1
                                        ;     Parent Loop BB0_6 Depth=2
                                        ;       Parent Loop BB0_11 Depth=3
                                        ;         Parent Loop BB0_37 Depth=4
                                        ; =>        This Inner Loop Header: Depth=5
	s_wait_kmcnt 0x0
	s_add_nc_u64 s[22:23], s[10:11], 0x59
	s_delay_alu instid0(SALU_CYCLE_1)
	v_cmp_le_u64_e64 s12, s[6:7], s[22:23]
	s_and_b32 vcc_lo, exec_lo, s12
	s_cbranch_vccz .LBB0_305
	s_branch .LBB0_308
.LBB0_307:                              ;   in Loop: Header=BB0_308 Depth=5
	s_sleep 3
	s_sendmsg_rtn_b64 s[10:11], sendmsg(MSG_RTN_GET_REALTIME)
.LBB0_308:                              ;   Parent Loop BB0_3 Depth=1
                                        ;     Parent Loop BB0_6 Depth=2
                                        ;       Parent Loop BB0_11 Depth=3
                                        ;         Parent Loop BB0_37 Depth=4
                                        ; =>        This Inner Loop Header: Depth=5
	s_wait_kmcnt 0x0
	s_add_nc_u64 s[22:23], s[10:11], 38
	s_delay_alu instid0(SALU_CYCLE_1)
	v_cmp_le_u64_e64 s12, s[6:7], s[22:23]
	s_and_b32 vcc_lo, exec_lo, s12
	s_cbranch_vccz .LBB0_307
; %bb.309:                              ;   in Loop: Header=BB0_37 Depth=4
	v_cmp_le_u64_e64 s10, s[6:7], s[10:11]
	s_and_b32 vcc_lo, exec_lo, s10
	s_cbranch_vccnz .LBB0_311
.LBB0_310:                              ;   Parent Loop BB0_3 Depth=1
                                        ;     Parent Loop BB0_6 Depth=2
                                        ;       Parent Loop BB0_11 Depth=3
                                        ;         Parent Loop BB0_37 Depth=4
                                        ; =>        This Inner Loop Header: Depth=5
	s_sleep 1
	s_sendmsg_rtn_b64 s[10:11], sendmsg(MSG_RTN_GET_REALTIME)
	s_wait_kmcnt 0x0
	v_cmp_gt_u64_e64 s10, s[6:7], s[10:11]
	s_and_b32 vcc_lo, exec_lo, s10
	s_cbranch_vccnz .LBB0_310
.LBB0_311:                              ;   in Loop: Header=BB0_37 Depth=4
	s_or_b32 exec_lo, exec_lo, s15
	v_mov_b32_e32 v2, s45
	s_and_saveexec_b32 s6, s4
	s_cbranch_execz .LBB0_313
; %bb.312:                              ;   in Loop: Header=BB0_37 Depth=4
	global_load_b32 v2, v[68:69], off offset:2304 scope:SCOPE_DEV
.LBB0_313:                              ;   in Loop: Header=BB0_37 Depth=4
	s_wait_xcnt 0x0
	s_or_b32 exec_lo, exec_lo, s6
	s_wait_loadcnt 0x0
	v_readfirstlane_b32 s45, v2
.LBB0_314:                              ;   in Loop: Header=BB0_37 Depth=4
	s_and_b32 vcc_lo, exec_lo, s14
	s_cbranch_vccz .LBB0_37
; %bb.315:                              ;   in Loop: Header=BB0_11 Depth=3
	v_mov_b32_e32 v22, v6
	s_mov_b32 s3, 0
.LBB0_316:                              ;   in Loop: Header=BB0_11 Depth=3
	s_delay_alu instid0(VALU_DEP_2)
	v_mov_b64_e32 v[2:3], v[52:53]
	s_and_b32 s3, s3, exec_lo
.LBB0_317:                              ;   in Loop: Header=BB0_11 Depth=3
	s_or_b32 exec_lo, exec_lo, s44
	s_delay_alu instid0(VALU_DEP_1)
	v_mov_b64_e32 v[52:53], v[2:3]
.LBB0_318:                              ;   in Loop: Header=BB0_11 Depth=3
	s_xor_b32 s3, s3, -1
	s_delay_alu instid0(SALU_CYCLE_1) | instskip(NEXT) | instid1(SALU_CYCLE_1)
	s_and_b32 s3, exec_lo, s3
	s_or_b32 s42, s3, s42
	s_delay_alu instid0(SALU_CYCLE_1)
	s_and_not1_b32 exec_lo, exec_lo, s42
	s_cbranch_execnz .LBB0_11
; %bb.319:                              ;   in Loop: Header=BB0_6 Depth=2
	s_or_b32 exec_lo, exec_lo, s42
	s_mov_b32 s2, 0
.LBB0_320:                              ;   in Loop: Header=BB0_6 Depth=2
	s_delay_alu instid0(SALU_CYCLE_1)
	s_and_b32 vcc_lo, exec_lo, s2
	s_cbranch_vccz .LBB0_600
; %bb.321:                              ;   in Loop: Header=BB0_6 Depth=2
	v_mbcnt_lo_u32_b32 v54, exec_lo, 0
	s_bcnt1_i32_b32 s24, exec_lo
                                        ; implicit-def: $vgpr52_vgpr53
	s_delay_alu instid0(VALU_DEP_1)
	v_cmp_eq_u32_e64 s2, 0, v54
.LBB0_322:                              ;   Parent Loop BB0_3 Depth=1
                                        ;     Parent Loop BB0_6 Depth=2
                                        ; =>    This Loop Header: Depth=3
                                        ;         Child Loop BB0_326 Depth 4
                                        ;         Child Loop BB0_347 Depth 4
                                        ;           Child Loop BB0_365 Depth 5
                                        ;           Child Loop BB0_373 Depth 5
	;; [unrolled: 1-line block ×29, first 2 shown]
                                        ;         Child Loop BB0_582 Depth 4
                                        ;         Child Loop BB0_585 Depth 4
	;; [unrolled: 1-line block ×7, first 2 shown]
	s_delay_alu instid0(VALU_DEP_1)
	s_cmp_eq_u32 s41, 0
	s_mov_b32 s3, -1
	s_cbranch_scc1 .LBB0_344
; %bb.323:                              ;   in Loop: Header=BB0_322 Depth=3
	v_mov_b32_e32 v2, 0
	s_and_saveexec_b32 s4, s2
	s_cbranch_execz .LBB0_325
; %bb.324:                              ;   in Loop: Header=BB0_322 Depth=3
	global_load_b32 v2, v[30:31], off scope:SCOPE_DEV
.LBB0_325:                              ;   in Loop: Header=BB0_322 Depth=3
	s_wait_xcnt 0x0
	s_or_b32 exec_lo, exec_lo, s4
	global_load_b32 v5, v[48:49], off offset:8
	s_cvt_f32_u32 s4, s41
	s_wait_loadcnt 0x1
	v_readfirstlane_b32 s5, v2
	s_sub_co_i32 s6, 0, s41
	v_rcp_iflag_f32_e32 v3, s4
	v_add_nc_u32_e32 v2, s5, v54
	s_delay_alu instid0(TRANS32_DEP_1) | instskip(SKIP_1) | instid1(SALU_CYCLE_3)
	v_readfirstlane_b32 s4, v3
	s_mul_f32 s4, s4, 0x4f7ffffe
	s_cvt_u32_f32 s4, s4
	s_delay_alu instid0(SALU_CYCLE_3) | instskip(NEXT) | instid1(SALU_CYCLE_1)
	s_mul_i32 s6, s6, s4
	s_mul_hi_u32 s5, s4, s6
	s_delay_alu instid0(SALU_CYCLE_1) | instskip(SKIP_2) | instid1(VALU_DEP_1)
	s_add_co_i32 s12, s4, s5
	s_mov_b32 s4, s41
	v_mul_hi_u32 v3, v2, s12
	v_mul_lo_u32 v3, v3, s41
	s_delay_alu instid0(VALU_DEP_1) | instskip(NEXT) | instid1(VALU_DEP_1)
	v_sub_nc_u32_e32 v2, v2, v3
	v_subrev_nc_u32_e32 v3, s41, v2
	v_cmp_le_u32_e32 vcc_lo, s41, v2
	s_delay_alu instid0(VALU_DEP_2) | instskip(NEXT) | instid1(VALU_DEP_1)
	v_cndmask_b32_e32 v2, v2, v3, vcc_lo
	v_subrev_nc_u32_e32 v3, s41, v2
	v_cmp_le_u32_e32 vcc_lo, s41, v2
	s_delay_alu instid0(VALU_DEP_2)
	v_cndmask_b32_e32 v10, v2, v3, vcc_lo
.LBB0_326:                              ;   Parent Loop BB0_3 Depth=1
                                        ;     Parent Loop BB0_6 Depth=2
                                        ;       Parent Loop BB0_322 Depth=3
                                        ; =>      This Inner Loop Header: Depth=4
	v_mov_b64_e32 v[2:3], v[50:51]
	s_delay_alu instid0(VALU_DEP_2)
	v_mov_b32_e32 v11, v10
	s_mov_b32 s5, exec_lo
	s_wait_xcnt 0x0
	v_cmpx_lt_u32_e32 0xff, v10
	s_cbranch_execz .LBB0_328
; %bb.327:                              ;   in Loop: Header=BB0_326 Depth=4
	v_add_nc_u32_e32 v2, 0xffffff00, v10
	v_and_b32_e32 v11, 0xff, v10
	s_delay_alu instid0(VALU_DEP_2) | instskip(NEXT) | instid1(VALU_DEP_1)
	v_lshrrev_b32_e32 v2, 8, v2
	v_mad_nc_u64_u32 v[2:3], v2, 24, v[32:33]
	global_load_b64 v[2:3], v[2:3], off offset:10240 scope:SCOPE_DEV
.LBB0_328:                              ;   in Loop: Header=BB0_326 Depth=4
	s_wait_xcnt 0x0
	s_or_b32 exec_lo, exec_lo, s5
	s_wait_loadcnt 0x0
	v_mad_nc_u64_u32 v[2:3], v11, 24, v[2:3]
	global_load_b32 v2, v[2:3], off offset:16 scope:SCOPE_DEV
	s_wait_loadcnt 0x0
	v_cmp_lt_u32_e32 vcc_lo, v2, v5
	s_cbranch_vccz .LBB0_330
; %bb.329:                              ;   in Loop: Header=BB0_326 Depth=4
	s_ctz_i32_b32 s5, vcc_lo
	s_delay_alu instid0(SALU_CYCLE_1)
	s_lshl_b32 s5, s5, 2
	s_wait_xcnt 0x0
	v_mov_b32_e32 v2, s5
	ds_bpermute_b32 v2, v2, v10
	s_branch .LBB0_331
.LBB0_330:                              ;   in Loop: Header=BB0_326 Depth=4
	s_wait_xcnt 0x0
	v_mov_b32_e32 v2, -1
.LBB0_331:                              ;   in Loop: Header=BB0_326 Depth=4
	s_wait_dscnt 0x0
	s_delay_alu instid0(VALU_DEP_1) | instskip(SKIP_3) | instid1(SALU_CYCLE_1)
	v_readfirstlane_b32 s6, v2
	s_mov_b32 s7, -1
                                        ; implicit-def: $vgpr2_vgpr3
	s_cmp_eq_u32 s6, -1
	s_cselect_b32 s5, -1, 0
	s_and_b32 vcc_lo, exec_lo, s5
	s_cbranch_vccnz .LBB0_335
; %bb.332:                              ;   in Loop: Header=BB0_326 Depth=4
	v_mov_b64_e32 v[2:3], v[50:51]
	s_cmp_lt_u32 s6, 0x100
	s_cbranch_scc1 .LBB0_334
; %bb.333:                              ;   in Loop: Header=BB0_326 Depth=4
	s_add_co_i32 s7, s6, 0xffffff00
	s_and_b32 s6, s6, 0xff
	s_lshr_b32 s7, s7, 8
	s_delay_alu instid0(SALU_CYCLE_1)
	v_mad_nc_u64_u32 v[2:3], s7, 24, v[32:33]
	global_load_b64 v[2:3], v[2:3], off offset:10240 scope:SCOPE_DEV
.LBB0_334:                              ;   in Loop: Header=BB0_326 Depth=4
	s_wait_loadcnt 0x0
	s_delay_alu instid0(VALU_DEP_1)
	v_mad_nc_u64_u32 v[2:3], s6, 24, v[2:3]
	s_mov_b32 s7, 0
.LBB0_335:                              ;   in Loop: Header=BB0_326 Depth=4
	s_delay_alu instid0(SALU_CYCLE_1)
	s_and_b32 vcc_lo, exec_lo, s7
	s_cbranch_vccz .LBB0_339
; %bb.336:                              ;   in Loop: Header=BB0_326 Depth=4
	v_dual_mov_b32 v3, v4 :: v_dual_add_nc_u32 v2, s24, v10
	s_delay_alu instid0(VALU_DEP_1) | instskip(NEXT) | instid1(VALU_DEP_1)
	v_mul_u64_e32 v[10:11], s[12:13], v[2:3]
	v_mul_lo_u32 v3, v11, s41
	s_delay_alu instid0(VALU_DEP_1) | instskip(NEXT) | instid1(VALU_DEP_1)
	v_sub_nc_u32_e32 v2, v2, v3
	v_subrev_nc_u32_e32 v3, s41, v2
	v_cmp_le_u32_e32 vcc_lo, s41, v2
	s_delay_alu instid0(VALU_DEP_2) | instskip(NEXT) | instid1(VALU_DEP_1)
	v_cndmask_b32_e32 v2, v2, v3, vcc_lo
	v_subrev_nc_u32_e32 v3, s41, v2
	v_cmp_le_u32_e32 vcc_lo, s41, v2
	s_delay_alu instid0(VALU_DEP_2)
	v_cndmask_b32_e32 v10, v2, v3, vcc_lo
	s_and_saveexec_b32 s6, s2
	s_cbranch_execz .LBB0_338
; %bb.337:                              ;   in Loop: Header=BB0_326 Depth=4
	global_store_b32 v[30:31], v10, off scope:SCOPE_DEV
.LBB0_338:                              ;   in Loop: Header=BB0_326 Depth=4
	s_wait_xcnt 0x0
	s_or_b32 exec_lo, exec_lo, s6
	s_sub_co_i32 s4, s4, s24
	s_branch .LBB0_340
.LBB0_339:                              ;   in Loop: Header=BB0_326 Depth=4
	s_delay_alu instid0(VALU_DEP_1)
	v_mov_b64_e32 v[52:53], v[2:3]
.LBB0_340:                              ;   in Loop: Header=BB0_326 Depth=4
	s_mov_b32 s6, -1
	s_and_not1_b32 vcc_lo, exec_lo, s5
	s_mov_b32 s5, -1
	s_cbranch_vccnz .LBB0_342
; %bb.341:                              ;   in Loop: Header=BB0_326 Depth=4
	s_cmp_lt_i32 s4, 1
	s_mov_b32 s6, 0
	s_cselect_b32 s5, -1, 0
.LBB0_342:                              ;   in Loop: Header=BB0_326 Depth=4
	s_delay_alu instid0(SALU_CYCLE_1)
	s_and_not1_b32 vcc_lo, exec_lo, s5
	s_cbranch_vccnz .LBB0_326
; %bb.343:                              ;   in Loop: Header=BB0_322 Depth=3
	s_xor_b32 s4, s6, -1
	s_branch .LBB0_345
.LBB0_344:                              ;   in Loop: Header=BB0_322 Depth=3
	s_mov_b32 s4, -1
.LBB0_345:                              ;   in Loop: Header=BB0_322 Depth=3
	s_delay_alu instid0(SALU_CYCLE_1)
	s_and_b32 vcc_lo, exec_lo, s4
	s_cbranch_vccz .LBB0_578
; %bb.346:                              ;   in Loop: Header=BB0_322 Depth=3
	v_mbcnt_lo_u32_b32 v2, exec_lo, 0
                                        ; implicit-def: $vgpr26_vgpr27
	s_delay_alu instid0(VALU_DEP_1)
	v_cmp_eq_u32_e64 s3, 0, v2
.LBB0_347:                              ;   Parent Loop BB0_3 Depth=1
                                        ;     Parent Loop BB0_6 Depth=2
                                        ;       Parent Loop BB0_322 Depth=3
                                        ; =>      This Loop Header: Depth=4
                                        ;           Child Loop BB0_365 Depth 5
                                        ;           Child Loop BB0_373 Depth 5
	;; [unrolled: 1-line block ×29, first 2 shown]
	v_mov_b32_e32 v2, 0
	s_delay_alu instid0(VALU_DEP_2)
	s_and_saveexec_b32 s4, s3
	s_cbranch_execz .LBB0_349
; %bb.348:                              ;   in Loop: Header=BB0_347 Depth=4
	global_load_b32 v2, v[30:31], off offset:2048 scope:SCOPE_DEV
.LBB0_349:                              ;   in Loop: Header=BB0_347 Depth=4
	s_wait_xcnt 0x0
	s_or_b32 exec_lo, exec_lo, s4
	s_wait_loadcnt 0x0
	v_readfirstlane_b32 s25, v2
	s_cmp_eq_u32 s25, 0x10100
	s_cbranch_scc1 .LBB0_459
; %bb.350:                              ;   in Loop: Header=BB0_347 Depth=4
	v_mov_b32_e32 v2, 0
	s_and_saveexec_b32 s4, s3
	s_cbranch_execz .LBB0_352
; %bb.351:                              ;   in Loop: Header=BB0_347 Depth=4
	global_atomic_cmpswap_b32 v2, v[38:39], v[36:37], off offset:4096 th:TH_ATOMIC_RETURN scope:SCOPE_DEV
	s_wait_loadcnt 0x0
	v_cmp_ne_u32_e32 vcc_lo, 0, v2
	v_cndmask_b32_e32 v2, 0x100, v2, vcc_lo
.LBB0_352:                              ;   in Loop: Header=BB0_347 Depth=4
	s_wait_xcnt 0x0
	s_or_b32 exec_lo, exec_lo, s4
	s_delay_alu instid0(VALU_DEP_1)
	v_readfirstlane_b32 s42, v2
	s_cmp_lg_u32 s25, s42
	s_cbranch_scc1 .LBB0_460
; %bb.353:                              ;   in Loop: Header=BB0_347 Depth=4
	v_mbcnt_lo_u32_b32 v3, exec_lo, 0
	v_mov_b32_e32 v2, 0
	s_delay_alu instid0(VALU_DEP_2)
	v_cmp_eq_u32_e64 s4, 0, v3
	s_and_saveexec_b32 s5, s4
	s_cbranch_execz .LBB0_355
; %bb.354:                              ;   in Loop: Header=BB0_347 Depth=4
	global_load_b32 v2, v[38:39], off offset:4096 scope:SCOPE_DEV
.LBB0_355:                              ;   in Loop: Header=BB0_347 Depth=4
	s_wait_xcnt 0x0
	s_or_b32 exec_lo, exec_lo, s5
	s_wait_loadcnt 0x0
	v_readfirstlane_b32 s22, v2
	s_mov_b32 s11, 2
	s_cmp_eq_u32 s22, 0x10100
	s_cbranch_scc1 .LBB0_440
; %bb.356:                              ;   in Loop: Header=BB0_347 Depth=4
	v_mov_b32_e32 v2, 1
	s_and_saveexec_b32 s5, s4
	s_cbranch_execz .LBB0_360
; %bb.357:                              ;   in Loop: Header=BB0_347 Depth=4
	global_load_b64 v[24:25], v[38:39], off offset:8192 scope:SCOPE_DEV
	s_sendmsg_rtn_b64 s[6:7], sendmsg(MSG_RTN_GET_REALTIME)
	s_wait_loadcnt 0x0
	s_wait_kmcnt 0x0
	v_sub_nc_u64_e32 v[2:3], s[6:7], v[24:25]
	s_delay_alu instid0(VALU_DEP_1)
	v_cmp_lt_u64_e32 vcc_lo, 0x752f, v[2:3]
	v_mov_b32_e32 v2, 1
	s_wait_xcnt 0x0
	s_and_saveexec_b32 s10, vcc_lo
	s_cbranch_execz .LBB0_359
; %bb.358:                              ;   in Loop: Header=BB0_347 Depth=4
	v_dual_mov_b32 v22, s6 :: v_dual_mov_b32 v23, s7
	global_atomic_cmpswap_b64 v[2:3], v[38:39], v[22:25], off offset:8192 th:TH_ATOMIC_RETURN scope:SCOPE_DEV
	s_wait_loadcnt 0x0
	v_cmp_eq_u64_e32 vcc_lo, v[2:3], v[24:25]
	v_cndmask_b32_e64 v2, 1, 2, vcc_lo
.LBB0_359:                              ;   in Loop: Header=BB0_347 Depth=4
	s_wait_xcnt 0x0
	s_or_b32 exec_lo, exec_lo, s10
.LBB0_360:                              ;   in Loop: Header=BB0_347 Depth=4
	s_delay_alu instid0(SALU_CYCLE_1) | instskip(NEXT) | instid1(VALU_DEP_1)
	s_or_b32 exec_lo, exec_lo, s5
	v_readfirstlane_b32 s43, v2
	s_mov_b32 s11, 1
	s_cmp_eq_u32 s43, 1
	s_cbranch_scc1 .LBB0_440
; %bb.361:                              ;   in Loop: Header=BB0_347 Depth=4
	v_mov_b32_e32 v3, 0
	s_delay_alu instid0(VALU_DEP_1)
	v_mov_b32_e32 v2, v3
	s_and_saveexec_b32 s23, s4
	s_cbranch_execz .LBB0_390
; %bb.362:                              ;   in Loop: Header=BB0_347 Depth=4
	s_load_b64 s[6:7], s[8:9], 0x50
	v_readfirstlane_b32 s5, v82
	v_mov_b64_e32 v[2:3], 0
	s_delay_alu instid0(VALU_DEP_2)
	v_cmp_eq_u32_e64 s5, s5, v82
	s_and_saveexec_b32 s10, s5
	s_cbranch_execz .LBB0_368
; %bb.363:                              ;   in Loop: Header=BB0_347 Depth=4
	s_wait_kmcnt 0x0
	global_load_b64 v[24:25], v4, s[6:7] offset:24 scope:SCOPE_SYS
	s_wait_loadcnt 0x0
	global_inv scope:SCOPE_SYS
	s_clause 0x1
	global_load_b64 v[2:3], v4, s[6:7] offset:40
	global_load_b64 v[10:11], v4, s[6:7]
	s_mov_b32 s11, exec_lo
	s_wait_loadcnt 0x1
	v_and_b32_e32 v2, v2, v24
	v_and_b32_e32 v3, v3, v25
	s_delay_alu instid0(VALU_DEP_1) | instskip(SKIP_1) | instid1(VALU_DEP_1)
	v_mul_u64_e32 v[2:3], 24, v[2:3]
	s_wait_loadcnt 0x0
	v_add_nc_u64_e32 v[2:3], v[10:11], v[2:3]
	global_load_b64 v[22:23], v[2:3], off scope:SCOPE_SYS
	s_wait_xcnt 0x0
	s_wait_loadcnt 0x0
	global_atomic_cmpswap_b64 v[2:3], v4, v[22:25], s[6:7] offset:24 th:TH_ATOMIC_RETURN scope:SCOPE_SYS
	s_wait_loadcnt 0x0
	global_inv scope:SCOPE_SYS
	s_wait_xcnt 0x0
	v_cmpx_ne_u64_e64 v[2:3], v[24:25]
	s_cbranch_execz .LBB0_367
; %bb.364:                              ;   in Loop: Header=BB0_347 Depth=4
	s_mov_b32 s12, 0
.LBB0_365:                              ;   Parent Loop BB0_3 Depth=1
                                        ;     Parent Loop BB0_6 Depth=2
                                        ;       Parent Loop BB0_322 Depth=3
                                        ;         Parent Loop BB0_347 Depth=4
                                        ; =>        This Inner Loop Header: Depth=5
	s_sleep 1
	s_clause 0x1
	global_load_b64 v[10:11], v4, s[6:7] offset:40
	global_load_b64 v[14:15], v4, s[6:7]
	v_mov_b64_e32 v[24:25], v[2:3]
	s_wait_loadcnt 0x1
	s_delay_alu instid0(VALU_DEP_1) | instskip(NEXT) | instid1(VALU_DEP_2)
	v_and_b32_e32 v2, v10, v24
	v_and_b32_e32 v5, v11, v25
	s_wait_loadcnt 0x0
	s_delay_alu instid0(VALU_DEP_2) | instskip(NEXT) | instid1(VALU_DEP_1)
	v_mad_nc_u64_u32 v[2:3], v2, 24, v[14:15]
	v_mad_u32 v3, v5, 24, v3
	global_load_b64 v[22:23], v[2:3], off scope:SCOPE_SYS
	s_wait_xcnt 0x0
	s_wait_loadcnt 0x0
	global_atomic_cmpswap_b64 v[2:3], v4, v[22:25], s[6:7] offset:24 th:TH_ATOMIC_RETURN scope:SCOPE_SYS
	s_wait_loadcnt 0x0
	global_inv scope:SCOPE_SYS
	v_cmp_eq_u64_e32 vcc_lo, v[2:3], v[24:25]
	s_or_b32 s12, vcc_lo, s12
	s_wait_xcnt 0x0
	s_and_not1_b32 exec_lo, exec_lo, s12
	s_cbranch_execnz .LBB0_365
; %bb.366:                              ;   in Loop: Header=BB0_347 Depth=4
	s_or_b32 exec_lo, exec_lo, s12
.LBB0_367:                              ;   in Loop: Header=BB0_347 Depth=4
	s_delay_alu instid0(SALU_CYCLE_1)
	s_or_b32 exec_lo, exec_lo, s11
.LBB0_368:                              ;   in Loop: Header=BB0_347 Depth=4
	s_delay_alu instid0(SALU_CYCLE_1)
	s_or_b32 exec_lo, exec_lo, s10
	s_wait_kmcnt 0x0
	s_clause 0x1
	global_load_b64 v[10:11], v4, s[6:7] offset:40
	global_load_b128 v[22:25], v4, s[6:7]
	v_readfirstlane_b32 s10, v2
	v_readfirstlane_b32 s11, v3
	s_mov_b32 s12, exec_lo
	s_wait_loadcnt 0x1
	v_and_b32_e32 v14, s10, v10
	v_and_b32_e32 v15, s11, v11
	s_delay_alu instid0(VALU_DEP_1) | instskip(SKIP_1) | instid1(VALU_DEP_1)
	v_mul_u64_e32 v[2:3], 24, v[14:15]
	s_wait_loadcnt 0x0
	v_add_nc_u64_e32 v[2:3], v[22:23], v[2:3]
	s_wait_xcnt 0x0
	s_and_saveexec_b32 s14, s5
	s_cbranch_execz .LBB0_370
; %bb.369:                              ;   in Loop: Header=BB0_347 Depth=4
	v_dual_mov_b32 v10, s12 :: v_dual_mov_b32 v11, v4
	global_store_b128 v[2:3], v[10:13], off offset:8
.LBB0_370:                              ;   in Loop: Header=BB0_347 Depth=4
	s_wait_xcnt 0x0
	s_or_b32 exec_lo, exec_lo, s14
	v_lshlrev_b64_e32 v[14:15], 12, v[14:15]
	s_mov_b32 s14, s13
	s_mov_b32 s15, s13
	;; [unrolled: 1-line block ×3, first 2 shown]
	v_mov_b64_e32 v[66:67], s[14:15]
	v_mov_b64_e32 v[64:65], s[12:13]
	v_lshlrev_b32_e32 v10, 6, v82
	v_add_nc_u64_e32 v[18:19], v[24:25], v[14:15]
	v_dual_mov_b32 v14, v4 :: v_dual_mov_b32 v15, v4
	v_mov_b32_e32 v17, v4
	s_delay_alu instid0(VALU_DEP_3) | instskip(NEXT) | instid1(VALU_DEP_4)
	v_readfirstlane_b32 s44, v18
	v_readfirstlane_b32 s45, v19
	s_clause 0x3
	global_store_b128 v10, v[14:17], s[44:45]
	global_store_b128 v10, v[64:67], s[44:45] offset:16
	global_store_b128 v10, v[64:67], s[44:45] offset:32
	;; [unrolled: 1-line block ×3, first 2 shown]
	s_wait_xcnt 0x0
	s_and_saveexec_b32 s12, s5
	s_cbranch_execz .LBB0_378
; %bb.371:                              ;   in Loop: Header=BB0_347 Depth=4
	s_clause 0x1
	global_load_b64 v[66:67], v4, s[6:7] offset:32 scope:SCOPE_SYS
	global_load_b64 v[14:15], v4, s[6:7] offset:40
	s_mov_b32 s14, exec_lo
	v_dual_mov_b32 v64, s10 :: v_dual_mov_b32 v65, s11
	s_wait_loadcnt 0x0
	v_and_b32_e32 v15, s11, v15
	v_and_b32_e32 v14, s10, v14
	s_delay_alu instid0(VALU_DEP_1) | instskip(NEXT) | instid1(VALU_DEP_1)
	v_mul_u64_e32 v[14:15], 24, v[14:15]
	v_add_nc_u64_e32 v[14:15], v[22:23], v[14:15]
	global_store_b64 v[14:15], v[66:67], off
	global_wb scope:SCOPE_SYS
	s_wait_storecnt 0x0
	s_wait_xcnt 0x0
	global_atomic_cmpswap_b64 v[24:25], v4, v[64:67], s[6:7] offset:32 th:TH_ATOMIC_RETURN scope:SCOPE_SYS
	s_wait_loadcnt 0x0
	v_cmpx_ne_u64_e64 v[24:25], v[66:67]
	s_cbranch_execz .LBB0_374
; %bb.372:                              ;   in Loop: Header=BB0_347 Depth=4
	s_mov_b32 s15, 0
.LBB0_373:                              ;   Parent Loop BB0_3 Depth=1
                                        ;     Parent Loop BB0_6 Depth=2
                                        ;       Parent Loop BB0_322 Depth=3
                                        ;         Parent Loop BB0_347 Depth=4
                                        ; =>        This Inner Loop Header: Depth=5
	v_dual_mov_b32 v22, s10 :: v_dual_mov_b32 v23, s11
	s_sleep 1
	global_store_b64 v[14:15], v[24:25], off
	global_wb scope:SCOPE_SYS
	s_wait_storecnt 0x0
	s_wait_xcnt 0x0
	global_atomic_cmpswap_b64 v[22:23], v4, v[22:25], s[6:7] offset:32 th:TH_ATOMIC_RETURN scope:SCOPE_SYS
	s_wait_loadcnt 0x0
	v_cmp_eq_u64_e32 vcc_lo, v[22:23], v[24:25]
	v_mov_b64_e32 v[24:25], v[22:23]
	s_or_b32 s15, vcc_lo, s15
	s_delay_alu instid0(SALU_CYCLE_1)
	s_and_not1_b32 exec_lo, exec_lo, s15
	s_cbranch_execnz .LBB0_373
.LBB0_374:                              ;   in Loop: Header=BB0_347 Depth=4
	s_or_b32 exec_lo, exec_lo, s14
	global_load_b64 v[14:15], v4, s[6:7] offset:16
	s_mov_b32 s15, exec_lo
	s_mov_b32 s14, exec_lo
	v_mbcnt_lo_u32_b32 v5, s15, 0
	s_wait_xcnt 0x0
	s_delay_alu instid0(VALU_DEP_1)
	v_cmpx_eq_u32_e32 0, v5
	s_cbranch_execz .LBB0_376
; %bb.375:                              ;   in Loop: Header=BB0_347 Depth=4
	s_bcnt1_i32_b32 s15, s15
	s_delay_alu instid0(SALU_CYCLE_1)
	v_dual_mov_b32 v23, v4 :: v_dual_mov_b32 v22, s15
	global_wb scope:SCOPE_SYS
	s_wait_loadcnt 0x0
	s_wait_storecnt 0x0
	global_atomic_add_u64 v[14:15], v[22:23], off offset:8 scope:SCOPE_SYS
.LBB0_376:                              ;   in Loop: Header=BB0_347 Depth=4
	s_wait_xcnt 0x0
	s_or_b32 exec_lo, exec_lo, s14
	s_wait_loadcnt 0x0
	global_load_b64 v[22:23], v[14:15], off offset:16
	s_wait_loadcnt 0x0
	v_cmp_eq_u64_e32 vcc_lo, 0, v[22:23]
	s_cbranch_vccnz .LBB0_378
; %bb.377:                              ;   in Loop: Header=BB0_347 Depth=4
	global_load_b32 v14, v[14:15], off offset:24
	s_wait_xcnt 0x0
	v_mov_b32_e32 v15, v4
	s_wait_loadcnt 0x0
	v_readfirstlane_b32 s14, v14
	global_wb scope:SCOPE_SYS
	s_wait_storecnt 0x0
	global_store_b64 v[22:23], v[14:15], off scope:SCOPE_SYS
	s_and_b32 m0, s14, 0xffffff
	s_sendmsg sendmsg(MSG_INTERRUPT)
.LBB0_378:                              ;   in Loop: Header=BB0_347 Depth=4
	s_wait_xcnt 0x0
	s_or_b32 exec_lo, exec_lo, s12
	v_mov_b32_e32 v11, v4
	s_delay_alu instid0(VALU_DEP_1)
	v_add_nc_u64_e32 v[10:11], v[18:19], v[10:11]
.LBB0_379:                              ;   Parent Loop BB0_3 Depth=1
                                        ;     Parent Loop BB0_6 Depth=2
                                        ;       Parent Loop BB0_322 Depth=3
                                        ;         Parent Loop BB0_347 Depth=4
                                        ; =>        This Inner Loop Header: Depth=5
	v_mov_b32_e32 v5, 1
	s_and_saveexec_b32 s12, s5
	s_cbranch_execz .LBB0_381
; %bb.380:                              ;   in Loop: Header=BB0_379 Depth=5
	global_load_b32 v5, v[2:3], off offset:20 scope:SCOPE_SYS
	s_wait_loadcnt 0x0
	global_inv scope:SCOPE_SYS
	v_and_b32_e32 v5, 1, v5
.LBB0_381:                              ;   in Loop: Header=BB0_379 Depth=5
	s_wait_xcnt 0x0
	s_or_b32 exec_lo, exec_lo, s12
	s_delay_alu instid0(VALU_DEP_1)
	v_readfirstlane_b32 s12, v5
	s_cmp_eq_u32 s12, 0
	s_cbranch_scc1 .LBB0_383
; %bb.382:                              ;   in Loop: Header=BB0_379 Depth=5
	s_mov_b32 s12, 0
	s_sleep 1
	s_branch .LBB0_384
.LBB0_383:                              ;   in Loop: Header=BB0_379 Depth=5
	s_mov_b32 s12, -1
.LBB0_384:                              ;   in Loop: Header=BB0_379 Depth=5
	s_delay_alu instid0(SALU_CYCLE_1)
	s_and_not1_b32 vcc_lo, exec_lo, s12
	s_cbranch_vccnz .LBB0_379
; %bb.385:                              ;   in Loop: Header=BB0_347 Depth=4
	global_load_b64 v[2:3], v[10:11], off
	s_wait_xcnt 0x0
	s_and_saveexec_b32 s12, s5
	s_cbranch_execz .LBB0_389
; %bb.386:                              ;   in Loop: Header=BB0_347 Depth=4
	s_clause 0x2
	global_load_b64 v[10:11], v4, s[6:7] offset:40
	global_load_b64 v[66:67], v4, s[6:7] offset:24 scope:SCOPE_SYS
	global_load_b64 v[14:15], v4, s[6:7]
	s_wait_loadcnt 0x2
	v_readfirstlane_b32 s14, v10
	v_readfirstlane_b32 s15, v11
	s_add_nc_u64 s[44:45], s[14:15], 1
	s_delay_alu instid0(SALU_CYCLE_1) | instskip(NEXT) | instid1(SALU_CYCLE_1)
	s_add_nc_u64 s[10:11], s[44:45], s[10:11]
	s_cmp_eq_u64 s[10:11], 0
	s_cselect_b32 s11, s45, s11
	s_cselect_b32 s10, s44, s10
	s_delay_alu instid0(SALU_CYCLE_1) | instskip(SKIP_1) | instid1(SALU_CYCLE_1)
	v_dual_mov_b32 v65, s11 :: v_dual_mov_b32 v64, s10
	s_and_b64 s[14:15], s[10:11], s[14:15]
	s_mul_u64 s[14:15], s[14:15], 24
	s_wait_loadcnt 0x0
	v_add_nc_u64_e32 v[10:11], s[14:15], v[14:15]
	global_store_b64 v[10:11], v[66:67], off
	global_wb scope:SCOPE_SYS
	s_wait_storecnt 0x0
	s_wait_xcnt 0x0
	global_atomic_cmpswap_b64 v[24:25], v4, v[64:67], s[6:7] offset:24 th:TH_ATOMIC_RETURN scope:SCOPE_SYS
	s_wait_loadcnt 0x0
	v_cmp_ne_u64_e32 vcc_lo, v[24:25], v[66:67]
	s_and_b32 exec_lo, exec_lo, vcc_lo
	s_cbranch_execz .LBB0_389
; %bb.387:                              ;   in Loop: Header=BB0_347 Depth=4
	s_mov_b32 s5, 0
.LBB0_388:                              ;   Parent Loop BB0_3 Depth=1
                                        ;     Parent Loop BB0_6 Depth=2
                                        ;       Parent Loop BB0_322 Depth=3
                                        ;         Parent Loop BB0_347 Depth=4
                                        ; =>        This Inner Loop Header: Depth=5
	v_dual_mov_b32 v22, s10 :: v_dual_mov_b32 v23, s11
	s_sleep 1
	global_store_b64 v[10:11], v[24:25], off
	global_wb scope:SCOPE_SYS
	s_wait_storecnt 0x0
	s_wait_xcnt 0x0
	global_atomic_cmpswap_b64 v[14:15], v4, v[22:25], s[6:7] offset:24 th:TH_ATOMIC_RETURN scope:SCOPE_SYS
	s_wait_loadcnt 0x0
	v_cmp_eq_u64_e32 vcc_lo, v[14:15], v[24:25]
	v_mov_b64_e32 v[24:25], v[14:15]
	s_or_b32 s5, vcc_lo, s5
	s_delay_alu instid0(SALU_CYCLE_1)
	s_and_not1_b32 exec_lo, exec_lo, s5
	s_cbranch_execnz .LBB0_388
.LBB0_389:                              ;   in Loop: Header=BB0_347 Depth=4
	s_or_b32 exec_lo, exec_lo, s12
.LBB0_390:                              ;   in Loop: Header=BB0_347 Depth=4
	s_delay_alu instid0(SALU_CYCLE_1)
	s_or_b32 exec_lo, exec_lo, s23
	s_wait_loadcnt 0x0
	v_readfirstlane_b32 s10, v2
	v_readfirstlane_b32 s11, v3
	s_cmp_eq_u64 s[10:11], 0
	s_cbranch_scc1 .LBB0_439
; %bb.391:                              ;   in Loop: Header=BB0_347 Depth=4
	s_mov_b32 s6, exec_lo
	s_mov_b32 s5, exec_lo
	v_mbcnt_lo_u32_b32 v5, s6, 0
	s_delay_alu instid0(VALU_DEP_1)
	v_cmpx_gt_u32_e32 0x300, v5
	s_cbranch_execz .LBB0_394
; %bb.392:                              ;   in Loop: Header=BB0_347 Depth=4
	v_dual_mov_b32 v3, v4 :: v_dual_lshlrev_b32 v2, 3, v5
	s_bcnt1_i32_b32 s6, s6
	s_mov_b32 s7, 0
	s_lshl_b32 s12, s6, 3
	s_delay_alu instid0(VALU_DEP_1)
	v_add_nc_u64_e32 v[2:3], s[10:11], v[2:3]
.LBB0_393:                              ;   Parent Loop BB0_3 Depth=1
                                        ;     Parent Loop BB0_6 Depth=2
                                        ;       Parent Loop BB0_322 Depth=3
                                        ;         Parent Loop BB0_347 Depth=4
                                        ; =>        This Inner Loop Header: Depth=5
	v_add_nc_u32_e32 v5, s6, v5
	global_store_b64 v[2:3], v[34:35], off
	s_wait_xcnt 0x0
	v_add_nc_u64_e32 v[2:3], s[12:13], v[2:3]
	v_cmp_lt_u32_e32 vcc_lo, 0x2ff, v5
	s_or_b32 s7, vcc_lo, s7
	s_delay_alu instid0(SALU_CYCLE_1)
	s_and_not1_b32 exec_lo, exec_lo, s7
	s_cbranch_execnz .LBB0_393
.LBB0_394:                              ;   in Loop: Header=BB0_347 Depth=4
	s_or_b32 exec_lo, exec_lo, s5
.LBB0_395:                              ;   Parent Loop BB0_3 Depth=1
                                        ;     Parent Loop BB0_6 Depth=2
                                        ;       Parent Loop BB0_322 Depth=3
                                        ;         Parent Loop BB0_347 Depth=4
                                        ; =>        This Inner Loop Header: Depth=5
	v_mov_b32_e32 v2, s22
	s_and_saveexec_b32 s5, s4
	s_cbranch_execz .LBB0_397
; %bb.396:                              ;   in Loop: Header=BB0_395 Depth=5
	global_load_b32 v2, v[38:39], off offset:4096 scope:SCOPE_DEV
.LBB0_397:                              ;   in Loop: Header=BB0_395 Depth=5
	s_wait_xcnt 0x0
	s_or_b32 exec_lo, exec_lo, s5
	s_wait_loadcnt 0x0
	v_readfirstlane_b32 s22, v2
	s_mov_b32 s6, -1
	s_cmp_lg_u32 s22, 0x10100
	s_cbranch_scc0 .LBB0_404
; %bb.398:                              ;   in Loop: Header=BB0_395 Depth=5
	v_mov_b32_e32 v2, s43
	s_and_saveexec_b32 s5, s4
	s_cbranch_execz .LBB0_402
; %bb.399:                              ;   in Loop: Header=BB0_395 Depth=5
	s_add_co_i32 s6, s22, 0xffffff00
	v_dual_mov_b32 v2, s10 :: v_dual_mov_b32 v3, s11
	s_lshr_b32 s6, s6, 8
	v_mov_b32_e32 v5, v4
	v_mad_nc_u64_u32 v[10:11], s6, 24, v[32:33]
	global_atomic_cmpswap_b64 v[2:3], v[10:11], v[2:5], off offset:10240 th:TH_ATOMIC_RETURN scope:SCOPE_DEV
	s_wait_loadcnt 0x0
	v_cmp_eq_u64_e32 vcc_lo, 0, v[2:3]
	s_wait_xcnt 0x0
	v_mov_b32_e32 v2, s43
	s_and_saveexec_b32 s6, vcc_lo
	s_cbranch_execz .LBB0_401
; %bb.400:                              ;   in Loop: Header=BB0_395 Depth=5
	global_wb scope:SCOPE_DEV
	s_wait_storecnt 0x0
	global_atomic_add_u32 v[38:39], v84, off offset:4096 scope:SCOPE_DEV
	v_mov_b32_e32 v2, 0
.LBB0_401:                              ;   in Loop: Header=BB0_395 Depth=5
	s_wait_xcnt 0x0
	s_or_b32 exec_lo, exec_lo, s6
.LBB0_402:                              ;   in Loop: Header=BB0_395 Depth=5
	s_delay_alu instid0(SALU_CYCLE_1) | instskip(NEXT) | instid1(VALU_DEP_1)
	s_or_b32 exec_lo, exec_lo, s5
	v_readfirstlane_b32 s6, v2
	s_cmp_eq_u32 s6, 0
	s_cbranch_scc1 .LBB0_405
; %bb.403:                              ;   in Loop: Header=BB0_395 Depth=5
	s_mov_b32 s5, 0
	s_mov_b32 s43, s6
	s_sleep 2
	s_branch .LBB0_406
.LBB0_404:                              ;   in Loop: Header=BB0_395 Depth=5
	s_mov_b32 s5, -1
	s_branch .LBB0_407
.LBB0_405:                              ;   in Loop: Header=BB0_395 Depth=5
	s_mov_b32 s5, -1
.LBB0_406:                              ;   in Loop: Header=BB0_395 Depth=5
	s_mov_b32 s6, 0
.LBB0_407:                              ;   in Loop: Header=BB0_395 Depth=5
	s_and_b32 vcc_lo, exec_lo, s5
	s_cbranch_vccz .LBB0_395
; %bb.408:                              ;   in Loop: Header=BB0_347 Depth=4
	s_and_b32 vcc_lo, exec_lo, s6
	s_mov_b32 s5, 0
	s_cbranch_vccz .LBB0_438
; %bb.409:                              ;   in Loop: Header=BB0_347 Depth=4
	s_and_saveexec_b32 s44, s4
	s_cbranch_execz .LBB0_437
; %bb.410:                              ;   in Loop: Header=BB0_347 Depth=4
	s_load_b64 s[6:7], s[8:9], 0x50
	v_readfirstlane_b32 s4, v82
	v_mov_b64_e32 v[2:3], 0
	s_delay_alu instid0(VALU_DEP_2)
	v_cmp_eq_u32_e64 s4, s4, v82
	s_and_saveexec_b32 s5, s4
	s_cbranch_execz .LBB0_416
; %bb.411:                              ;   in Loop: Header=BB0_347 Depth=4
	s_wait_kmcnt 0x0
	global_load_b64 v[24:25], v4, s[6:7] offset:24 scope:SCOPE_SYS
	s_wait_loadcnt 0x0
	global_inv scope:SCOPE_SYS
	s_clause 0x1
	global_load_b64 v[2:3], v4, s[6:7] offset:40
	global_load_b64 v[10:11], v4, s[6:7]
	s_mov_b32 s12, exec_lo
	s_wait_loadcnt 0x1
	v_and_b32_e32 v2, v2, v24
	v_and_b32_e32 v3, v3, v25
	s_delay_alu instid0(VALU_DEP_1) | instskip(SKIP_1) | instid1(VALU_DEP_1)
	v_mul_u64_e32 v[2:3], 24, v[2:3]
	s_wait_loadcnt 0x0
	v_add_nc_u64_e32 v[2:3], v[10:11], v[2:3]
	global_load_b64 v[22:23], v[2:3], off scope:SCOPE_SYS
	s_wait_xcnt 0x0
	s_wait_loadcnt 0x0
	global_atomic_cmpswap_b64 v[2:3], v4, v[22:25], s[6:7] offset:24 th:TH_ATOMIC_RETURN scope:SCOPE_SYS
	s_wait_loadcnt 0x0
	global_inv scope:SCOPE_SYS
	s_wait_xcnt 0x0
	v_cmpx_ne_u64_e64 v[2:3], v[24:25]
	s_cbranch_execz .LBB0_415
; %bb.412:                              ;   in Loop: Header=BB0_347 Depth=4
	s_mov_b32 s14, 0
.LBB0_413:                              ;   Parent Loop BB0_3 Depth=1
                                        ;     Parent Loop BB0_6 Depth=2
                                        ;       Parent Loop BB0_322 Depth=3
                                        ;         Parent Loop BB0_347 Depth=4
                                        ; =>        This Inner Loop Header: Depth=5
	s_sleep 1
	s_clause 0x1
	global_load_b64 v[10:11], v4, s[6:7] offset:40
	global_load_b64 v[14:15], v4, s[6:7]
	v_mov_b64_e32 v[24:25], v[2:3]
	s_wait_loadcnt 0x1
	s_delay_alu instid0(VALU_DEP_1) | instskip(NEXT) | instid1(VALU_DEP_2)
	v_and_b32_e32 v2, v10, v24
	v_and_b32_e32 v5, v11, v25
	s_wait_loadcnt 0x0
	s_delay_alu instid0(VALU_DEP_2) | instskip(NEXT) | instid1(VALU_DEP_1)
	v_mad_nc_u64_u32 v[2:3], v2, 24, v[14:15]
	v_mad_u32 v3, v5, 24, v3
	global_load_b64 v[22:23], v[2:3], off scope:SCOPE_SYS
	s_wait_xcnt 0x0
	s_wait_loadcnt 0x0
	global_atomic_cmpswap_b64 v[2:3], v4, v[22:25], s[6:7] offset:24 th:TH_ATOMIC_RETURN scope:SCOPE_SYS
	s_wait_loadcnt 0x0
	global_inv scope:SCOPE_SYS
	v_cmp_eq_u64_e32 vcc_lo, v[2:3], v[24:25]
	s_or_b32 s14, vcc_lo, s14
	s_wait_xcnt 0x0
	s_and_not1_b32 exec_lo, exec_lo, s14
	s_cbranch_execnz .LBB0_413
; %bb.414:                              ;   in Loop: Header=BB0_347 Depth=4
	s_or_b32 exec_lo, exec_lo, s14
.LBB0_415:                              ;   in Loop: Header=BB0_347 Depth=4
	s_delay_alu instid0(SALU_CYCLE_1)
	s_or_b32 exec_lo, exec_lo, s12
.LBB0_416:                              ;   in Loop: Header=BB0_347 Depth=4
	s_delay_alu instid0(SALU_CYCLE_1)
	s_or_b32 exec_lo, exec_lo, s5
	s_wait_kmcnt 0x0
	s_clause 0x1
	global_load_b64 v[10:11], v4, s[6:7] offset:40
	global_load_b128 v[22:25], v4, s[6:7]
	v_readfirstlane_b32 s22, v2
	v_readfirstlane_b32 s23, v3
	s_mov_b32 s5, exec_lo
	s_wait_loadcnt 0x1
	v_and_b32_e32 v14, s22, v10
	v_and_b32_e32 v15, s23, v11
	s_delay_alu instid0(VALU_DEP_1) | instskip(SKIP_1) | instid1(VALU_DEP_1)
	v_mul_u64_e32 v[2:3], 24, v[14:15]
	s_wait_loadcnt 0x0
	v_add_nc_u64_e32 v[2:3], v[22:23], v[2:3]
	s_wait_xcnt 0x0
	s_and_saveexec_b32 s12, s4
	s_cbranch_execz .LBB0_418
; %bb.417:                              ;   in Loop: Header=BB0_347 Depth=4
	v_dual_mov_b32 v10, s5 :: v_dual_mov_b32 v11, v4
	global_store_b128 v[2:3], v[10:13], off offset:8
.LBB0_418:                              ;   in Loop: Header=BB0_347 Depth=4
	s_wait_xcnt 0x0
	s_or_b32 exec_lo, exec_lo, s12
	v_lshlrev_b64_e32 v[10:11], 12, v[14:15]
	s_mov_b32 s14, s13
	s_mov_b32 s15, s13
	;; [unrolled: 1-line block ×3, first 2 shown]
	v_mov_b64_e32 v[14:15], s[10:11]
	v_mov_b64_e32 v[66:67], s[14:15]
	;; [unrolled: 1-line block ×3, first 2 shown]
	v_add_nc_u64_e32 v[10:11], v[24:25], v[10:11]
	v_lshlrev_b32_e32 v5, 6, v82
	s_delay_alu instid0(VALU_DEP_2) | instskip(NEXT) | instid1(VALU_DEP_3)
	v_readfirstlane_b32 s10, v10
	v_readfirstlane_b32 s11, v11
	s_clause 0x4
	global_store_b64 v5, v[14:15], s[10:11]
	global_store_b128 v5, v[64:67], s[10:11] offset:8
	global_store_b128 v5, v[64:67], s[10:11] offset:24
	;; [unrolled: 1-line block ×3, first 2 shown]
	global_store_b64 v5, v[34:35], s[10:11] offset:56
	s_wait_xcnt 0x0
	s_and_saveexec_b32 s5, s4
	s_cbranch_execz .LBB0_426
; %bb.419:                              ;   in Loop: Header=BB0_347 Depth=4
	s_clause 0x1
	global_load_b64 v[66:67], v4, s[6:7] offset:32 scope:SCOPE_SYS
	global_load_b64 v[10:11], v4, s[6:7] offset:40
	s_mov_b32 s10, exec_lo
	v_dual_mov_b32 v64, s22 :: v_dual_mov_b32 v65, s23
	s_wait_loadcnt 0x0
	v_and_b32_e32 v11, s23, v11
	v_and_b32_e32 v10, s22, v10
	s_delay_alu instid0(VALU_DEP_1) | instskip(NEXT) | instid1(VALU_DEP_1)
	v_mul_u64_e32 v[10:11], 24, v[10:11]
	v_add_nc_u64_e32 v[10:11], v[22:23], v[10:11]
	global_store_b64 v[10:11], v[66:67], off
	global_wb scope:SCOPE_SYS
	s_wait_storecnt 0x0
	s_wait_xcnt 0x0
	global_atomic_cmpswap_b64 v[24:25], v4, v[64:67], s[6:7] offset:32 th:TH_ATOMIC_RETURN scope:SCOPE_SYS
	s_wait_loadcnt 0x0
	v_cmpx_ne_u64_e64 v[24:25], v[66:67]
	s_cbranch_execz .LBB0_422
; %bb.420:                              ;   in Loop: Header=BB0_347 Depth=4
	s_mov_b32 s11, 0
.LBB0_421:                              ;   Parent Loop BB0_3 Depth=1
                                        ;     Parent Loop BB0_6 Depth=2
                                        ;       Parent Loop BB0_322 Depth=3
                                        ;         Parent Loop BB0_347 Depth=4
                                        ; =>        This Inner Loop Header: Depth=5
	v_dual_mov_b32 v22, s22 :: v_dual_mov_b32 v23, s23
	s_sleep 1
	global_store_b64 v[10:11], v[24:25], off
	global_wb scope:SCOPE_SYS
	s_wait_storecnt 0x0
	s_wait_xcnt 0x0
	global_atomic_cmpswap_b64 v[14:15], v4, v[22:25], s[6:7] offset:32 th:TH_ATOMIC_RETURN scope:SCOPE_SYS
	s_wait_loadcnt 0x0
	v_cmp_eq_u64_e32 vcc_lo, v[14:15], v[24:25]
	v_mov_b64_e32 v[24:25], v[14:15]
	s_or_b32 s11, vcc_lo, s11
	s_delay_alu instid0(SALU_CYCLE_1)
	s_and_not1_b32 exec_lo, exec_lo, s11
	s_cbranch_execnz .LBB0_421
.LBB0_422:                              ;   in Loop: Header=BB0_347 Depth=4
	s_or_b32 exec_lo, exec_lo, s10
	global_load_b64 v[10:11], v4, s[6:7] offset:16
	s_mov_b32 s11, exec_lo
	s_mov_b32 s10, exec_lo
	v_mbcnt_lo_u32_b32 v5, s11, 0
	s_wait_xcnt 0x0
	s_delay_alu instid0(VALU_DEP_1)
	v_cmpx_eq_u32_e32 0, v5
	s_cbranch_execz .LBB0_424
; %bb.423:                              ;   in Loop: Header=BB0_347 Depth=4
	s_bcnt1_i32_b32 s11, s11
	s_delay_alu instid0(SALU_CYCLE_1)
	v_dual_mov_b32 v15, v4 :: v_dual_mov_b32 v14, s11
	global_wb scope:SCOPE_SYS
	s_wait_loadcnt 0x0
	s_wait_storecnt 0x0
	global_atomic_add_u64 v[10:11], v[14:15], off offset:8 scope:SCOPE_SYS
.LBB0_424:                              ;   in Loop: Header=BB0_347 Depth=4
	s_wait_xcnt 0x0
	s_or_b32 exec_lo, exec_lo, s10
	s_wait_loadcnt 0x0
	global_load_b64 v[14:15], v[10:11], off offset:16
	s_wait_loadcnt 0x0
	v_cmp_eq_u64_e32 vcc_lo, 0, v[14:15]
	s_cbranch_vccnz .LBB0_426
; %bb.425:                              ;   in Loop: Header=BB0_347 Depth=4
	global_load_b32 v10, v[10:11], off offset:24
	s_wait_xcnt 0x0
	v_mov_b32_e32 v11, v4
	s_wait_loadcnt 0x0
	v_readfirstlane_b32 s10, v10
	global_wb scope:SCOPE_SYS
	s_wait_storecnt 0x0
	global_store_b64 v[14:15], v[10:11], off scope:SCOPE_SYS
	s_and_b32 m0, s10, 0xffffff
	s_sendmsg sendmsg(MSG_INTERRUPT)
.LBB0_426:                              ;   in Loop: Header=BB0_347 Depth=4
	s_wait_xcnt 0x0
	s_or_b32 exec_lo, exec_lo, s5
.LBB0_427:                              ;   Parent Loop BB0_3 Depth=1
                                        ;     Parent Loop BB0_6 Depth=2
                                        ;       Parent Loop BB0_322 Depth=3
                                        ;         Parent Loop BB0_347 Depth=4
                                        ; =>        This Inner Loop Header: Depth=5
	v_mov_b32_e32 v5, 1
	s_and_saveexec_b32 s5, s4
	s_cbranch_execz .LBB0_429
; %bb.428:                              ;   in Loop: Header=BB0_427 Depth=5
	global_load_b32 v5, v[2:3], off offset:20 scope:SCOPE_SYS
	s_wait_loadcnt 0x0
	global_inv scope:SCOPE_SYS
	v_and_b32_e32 v5, 1, v5
.LBB0_429:                              ;   in Loop: Header=BB0_427 Depth=5
	s_wait_xcnt 0x0
	s_or_b32 exec_lo, exec_lo, s5
	s_delay_alu instid0(VALU_DEP_1)
	v_readfirstlane_b32 s5, v5
	s_cmp_eq_u32 s5, 0
	s_cbranch_scc1 .LBB0_431
; %bb.430:                              ;   in Loop: Header=BB0_427 Depth=5
	s_mov_b32 s5, 0
	s_sleep 1
	s_branch .LBB0_432
.LBB0_431:                              ;   in Loop: Header=BB0_427 Depth=5
	s_mov_b32 s5, -1
.LBB0_432:                              ;   in Loop: Header=BB0_427 Depth=5
	s_delay_alu instid0(SALU_CYCLE_1)
	s_and_not1_b32 vcc_lo, exec_lo, s5
	s_cbranch_vccnz .LBB0_427
; %bb.433:                              ;   in Loop: Header=BB0_347 Depth=4
	s_and_b32 exec_lo, exec_lo, s4
	s_cbranch_execz .LBB0_437
; %bb.434:                              ;   in Loop: Header=BB0_347 Depth=4
	s_clause 0x2
	global_load_b64 v[2:3], v4, s[6:7] offset:40
	global_load_b64 v[66:67], v4, s[6:7] offset:24 scope:SCOPE_SYS
	global_load_b64 v[10:11], v4, s[6:7]
	s_wait_loadcnt 0x2
	v_readfirstlane_b32 s10, v2
	v_readfirstlane_b32 s11, v3
	s_add_nc_u64 s[4:5], s[10:11], 1
	s_delay_alu instid0(SALU_CYCLE_1) | instskip(NEXT) | instid1(SALU_CYCLE_1)
	s_add_nc_u64 s[14:15], s[4:5], s[22:23]
	s_cmp_eq_u64 s[14:15], 0
	s_cselect_b32 s5, s5, s15
	s_cselect_b32 s4, s4, s14
	s_delay_alu instid0(SALU_CYCLE_1) | instskip(SKIP_1) | instid1(SALU_CYCLE_1)
	v_dual_mov_b32 v65, s5 :: v_dual_mov_b32 v64, s4
	s_and_b64 s[10:11], s[4:5], s[10:11]
	s_mul_u64 s[10:11], s[10:11], 24
	s_wait_loadcnt 0x0
	v_add_nc_u64_e32 v[2:3], s[10:11], v[10:11]
	global_store_b64 v[2:3], v[66:67], off
	global_wb scope:SCOPE_SYS
	s_wait_storecnt 0x0
	s_wait_xcnt 0x0
	global_atomic_cmpswap_b64 v[24:25], v4, v[64:67], s[6:7] offset:24 th:TH_ATOMIC_RETURN scope:SCOPE_SYS
	s_wait_loadcnt 0x0
	v_cmp_ne_u64_e32 vcc_lo, v[24:25], v[66:67]
	s_and_b32 exec_lo, exec_lo, vcc_lo
	s_cbranch_execz .LBB0_437
; %bb.435:                              ;   in Loop: Header=BB0_347 Depth=4
	s_mov_b32 s10, 0
.LBB0_436:                              ;   Parent Loop BB0_3 Depth=1
                                        ;     Parent Loop BB0_6 Depth=2
                                        ;       Parent Loop BB0_322 Depth=3
                                        ;         Parent Loop BB0_347 Depth=4
                                        ; =>        This Inner Loop Header: Depth=5
	v_dual_mov_b32 v22, s4 :: v_dual_mov_b32 v23, s5
	s_sleep 1
	global_store_b64 v[2:3], v[24:25], off
	global_wb scope:SCOPE_SYS
	s_wait_storecnt 0x0
	s_wait_xcnt 0x0
	global_atomic_cmpswap_b64 v[10:11], v4, v[22:25], s[6:7] offset:24 th:TH_ATOMIC_RETURN scope:SCOPE_SYS
	s_wait_loadcnt 0x0
	v_cmp_eq_u64_e32 vcc_lo, v[10:11], v[24:25]
	v_mov_b64_e32 v[24:25], v[10:11]
	s_or_b32 s10, vcc_lo, s10
	s_delay_alu instid0(SALU_CYCLE_1)
	s_and_not1_b32 exec_lo, exec_lo, s10
	s_cbranch_execnz .LBB0_436
.LBB0_437:                              ;   in Loop: Header=BB0_347 Depth=4
	s_or_b32 exec_lo, exec_lo, s44
	s_mov_b32 s5, s43
.LBB0_438:                              ;   in Loop: Header=BB0_347 Depth=4
	s_delay_alu instid0(SALU_CYCLE_1)
	s_mov_b32 s43, s5
.LBB0_439:                              ;   in Loop: Header=BB0_347 Depth=4
	s_delay_alu instid0(SALU_CYCLE_1)
	s_mov_b32 s11, s43
.LBB0_440:                              ;   in Loop: Header=BB0_347 Depth=4
	s_delay_alu instid0(SALU_CYCLE_1) | instskip(SKIP_1) | instid1(SALU_CYCLE_1)
	s_cmp_eq_u32 s11, 0
	s_cselect_b32 s10, -1, 0
	s_and_b32 vcc_lo, exec_lo, s10
	s_cbranch_vccnz .LBB0_461
; %bb.441:                              ;   in Loop: Header=BB0_347 Depth=4
	v_mbcnt_lo_u32_b32 v2, exec_lo, 0
	s_mov_b32 s14, exec_lo
	s_delay_alu instid0(VALU_DEP_1)
	v_cmpx_eq_u32_e32 0, v2
	s_cbranch_execz .LBB0_458
; %bb.442:                              ;   in Loop: Header=BB0_347 Depth=4
	global_load_b64 v[2:3], v[38:39], off offset:8192 scope:SCOPE_DEV
	s_sendmsg_rtn_b64 s[4:5], sendmsg(MSG_RTN_GET_REALTIME)
	s_wait_loadcnt 0x0
	s_wait_kmcnt 0x0
	v_sub_nc_u64_e32 v[2:3], s[4:5], v[2:3]
	s_delay_alu instid0(VALU_DEP_1)
	v_cmp_gt_u64_e32 vcc_lo, 0x7530, v[2:3]
	s_wait_xcnt 0x0
	s_and_b32 exec_lo, exec_lo, vcc_lo
	s_cbranch_execz .LBB0_458
; %bb.443:                              ;   in Loop: Header=BB0_347 Depth=4
	v_readfirstlane_b32 s4, v2
	s_sendmsg_rtn_b64 s[6:7], sendmsg(MSG_RTN_GET_REALTIME)
	s_sub_co_i32 s12, 0x7530, s4
	s_wait_kmcnt 0x0
	s_add_nc_u64 s[4:5], s[12:13], s[6:7]
.LBB0_444:                              ;   Parent Loop BB0_3 Depth=1
                                        ;     Parent Loop BB0_6 Depth=2
                                        ;       Parent Loop BB0_322 Depth=3
                                        ;         Parent Loop BB0_347 Depth=4
                                        ; =>        This Inner Loop Header: Depth=5
	s_wait_kmcnt 0x0
	s_add_nc_u64 s[22:23], s[6:7], 0x659
	s_delay_alu instid0(SALU_CYCLE_1)
	v_cmp_le_u64_e64 s12, s[4:5], s[22:23]
	s_and_b32 vcc_lo, exec_lo, s12
	s_cbranch_vccnz .LBB0_447
; %bb.445:                              ;   in Loop: Header=BB0_444 Depth=5
	s_sleep 0x7f
	s_sendmsg_rtn_b64 s[6:7], sendmsg(MSG_RTN_GET_REALTIME)
	s_branch .LBB0_444
.LBB0_446:                              ;   in Loop: Header=BB0_447 Depth=5
	s_sleep 63
	s_sendmsg_rtn_b64 s[6:7], sendmsg(MSG_RTN_GET_REALTIME)
.LBB0_447:                              ;   Parent Loop BB0_3 Depth=1
                                        ;     Parent Loop BB0_6 Depth=2
                                        ;       Parent Loop BB0_322 Depth=3
                                        ;         Parent Loop BB0_347 Depth=4
                                        ; =>        This Inner Loop Header: Depth=5
	s_wait_kmcnt 0x0
	s_add_nc_u64 s[22:23], s[6:7], 0x326
	s_delay_alu instid0(SALU_CYCLE_1)
	v_cmp_le_u64_e64 s12, s[4:5], s[22:23]
	s_and_b32 vcc_lo, exec_lo, s12
	s_cbranch_vccz .LBB0_446
; %bb.448:                              ;   in Loop: Header=BB0_347 Depth=4
	s_add_nc_u64 s[22:23], s[6:7], 0x18c
	s_delay_alu instid0(SALU_CYCLE_1)
	v_cmp_le_u64_e64 s12, s[4:5], s[22:23]
	s_and_b32 vcc_lo, exec_lo, s12
	s_cbranch_vccnz .LBB0_451
.LBB0_449:                              ;   Parent Loop BB0_3 Depth=1
                                        ;     Parent Loop BB0_6 Depth=2
                                        ;       Parent Loop BB0_322 Depth=3
                                        ;         Parent Loop BB0_347 Depth=4
                                        ; =>        This Inner Loop Header: Depth=5
	s_sleep 31
	s_sendmsg_rtn_b64 s[6:7], sendmsg(MSG_RTN_GET_REALTIME)
	s_wait_kmcnt 0x0
	s_add_nc_u64 s[22:23], s[6:7], 0x18c
	s_delay_alu instid0(SALU_CYCLE_1)
	v_cmp_gt_u64_e64 s12, s[4:5], s[22:23]
	s_and_b32 vcc_lo, exec_lo, s12
	s_cbranch_vccnz .LBB0_449
	s_branch .LBB0_451
.LBB0_450:                              ;   in Loop: Header=BB0_451 Depth=5
	s_sleep 15
	s_sendmsg_rtn_b64 s[6:7], sendmsg(MSG_RTN_GET_REALTIME)
.LBB0_451:                              ;   Parent Loop BB0_3 Depth=1
                                        ;     Parent Loop BB0_6 Depth=2
                                        ;       Parent Loop BB0_322 Depth=3
                                        ;         Parent Loop BB0_347 Depth=4
                                        ; =>        This Inner Loop Header: Depth=5
	s_wait_kmcnt 0x0
	s_add_nc_u64 s[22:23], s[6:7], 0xc0
	s_delay_alu instid0(SALU_CYCLE_1)
	v_cmp_le_u64_e64 s12, s[4:5], s[22:23]
	s_and_b32 vcc_lo, exec_lo, s12
	s_cbranch_vccz .LBB0_450
	s_branch .LBB0_453
.LBB0_452:                              ;   in Loop: Header=BB0_453 Depth=5
	s_sleep 7
	s_sendmsg_rtn_b64 s[6:7], sendmsg(MSG_RTN_GET_REALTIME)
.LBB0_453:                              ;   Parent Loop BB0_3 Depth=1
                                        ;     Parent Loop BB0_6 Depth=2
                                        ;       Parent Loop BB0_322 Depth=3
                                        ;         Parent Loop BB0_347 Depth=4
                                        ; =>        This Inner Loop Header: Depth=5
	s_wait_kmcnt 0x0
	s_add_nc_u64 s[22:23], s[6:7], 0x59
	s_delay_alu instid0(SALU_CYCLE_1)
	v_cmp_le_u64_e64 s12, s[4:5], s[22:23]
	s_and_b32 vcc_lo, exec_lo, s12
	s_cbranch_vccz .LBB0_452
	;; [unrolled: 15-line block ×3, first 2 shown]
; %bb.456:                              ;   in Loop: Header=BB0_347 Depth=4
	v_cmp_le_u64_e64 s6, s[4:5], s[6:7]
	s_and_b32 vcc_lo, exec_lo, s6
	s_cbranch_vccnz .LBB0_458
.LBB0_457:                              ;   Parent Loop BB0_3 Depth=1
                                        ;     Parent Loop BB0_6 Depth=2
                                        ;       Parent Loop BB0_322 Depth=3
                                        ;         Parent Loop BB0_347 Depth=4
                                        ; =>        This Inner Loop Header: Depth=5
	s_sleep 1
	s_sendmsg_rtn_b64 s[6:7], sendmsg(MSG_RTN_GET_REALTIME)
	s_wait_kmcnt 0x0
	v_cmp_gt_u64_e64 s6, s[4:5], s[6:7]
	s_and_b32 vcc_lo, exec_lo, s6
	s_cbranch_vccnz .LBB0_457
.LBB0_458:                              ;   in Loop: Header=BB0_347 Depth=4
	s_or_b32 exec_lo, exec_lo, s14
	s_cmp_lg_u32 s11, 2
	v_mov_b32_e32 v27, s13
	s_cselect_b32 s4, -1, 0
	s_delay_alu instid0(SALU_CYCLE_1)
	v_cndmask_b32_e64 v26, 0, 1, s4
	s_branch .LBB0_461
.LBB0_459:                              ;   in Loop: Header=BB0_347 Depth=4
	v_mov_b64_e32 v[26:27], 0
	s_mov_b32 s4, 0
	s_branch .LBB0_575
.LBB0_460:                              ;   in Loop: Header=BB0_347 Depth=4
	s_mov_b32 s10, -1
.LBB0_461:                              ;   in Loop: Header=BB0_347 Depth=4
	s_delay_alu instid0(SALU_CYCLE_1)
	s_and_b32 vcc_lo, exec_lo, s10
	s_mov_b32 s4, 0
	s_cbranch_vccz .LBB0_575
; %bb.462:                              ;   in Loop: Header=BB0_347 Depth=4
	v_mov_b32_e32 v2, 1
	s_and_saveexec_b32 s6, s3
	s_cbranch_execz .LBB0_466
; %bb.463:                              ;   in Loop: Header=BB0_347 Depth=4
	global_load_b64 v[24:25], v[38:39], off offset:6144 scope:SCOPE_DEV
	s_sendmsg_rtn_b64 s[4:5], sendmsg(MSG_RTN_GET_REALTIME)
	s_wait_loadcnt 0x0
	s_wait_kmcnt 0x0
	v_sub_nc_u64_e32 v[2:3], s[4:5], v[24:25]
	s_delay_alu instid0(VALU_DEP_1)
	v_cmp_lt_u64_e32 vcc_lo, 0x4e1f, v[2:3]
	v_mov_b32_e32 v2, 1
	s_wait_xcnt 0x0
	s_and_saveexec_b32 s7, vcc_lo
	s_cbranch_execz .LBB0_465
; %bb.464:                              ;   in Loop: Header=BB0_347 Depth=4
	v_dual_mov_b32 v22, s4 :: v_dual_mov_b32 v23, s5
	global_atomic_cmpswap_b64 v[2:3], v[38:39], v[22:25], off offset:6144 th:TH_ATOMIC_RETURN scope:SCOPE_DEV
	s_wait_loadcnt 0x0
	v_cmp_ne_u64_e32 vcc_lo, v[2:3], v[24:25]
	v_cndmask_b32_e64 v2, 0, 1, vcc_lo
.LBB0_465:                              ;   in Loop: Header=BB0_347 Depth=4
	s_wait_xcnt 0x0
	s_or_b32 exec_lo, exec_lo, s7
.LBB0_466:                              ;   in Loop: Header=BB0_347 Depth=4
	s_delay_alu instid0(SALU_CYCLE_1) | instskip(NEXT) | instid1(VALU_DEP_1)
	s_or_b32 exec_lo, exec_lo, s6
	v_readfirstlane_b32 s12, v2
	s_mov_b32 s4, 0
	v_mov_b64_e32 v[2:3], s[12:13]
	s_cmp_lg_u64 s[12:13], 0
	s_cbranch_scc1 .LBB0_574
; %bb.467:                              ;   in Loop: Header=BB0_347 Depth=4
	v_mov_b64_e32 v[2:3], 0
	v_mov_b64_e32 v[10:11], 0
	s_and_saveexec_b32 s22, s3
	s_cbranch_execz .LBB0_502
; %bb.468:                              ;   in Loop: Header=BB0_347 Depth=4
	s_clause 0x1
	global_load_b64 v[10:11], v4, s[16:17] offset:108544 scope:SCOPE_DEV
	global_load_b64 v[14:15], v4, s[16:17] offset:108552
	s_mov_b32 s4, -1
	s_wait_loadcnt 0x0
	v_cmp_ge_u64_e32 vcc_lo, v[10:11], v[14:15]
                                        ; implicit-def: $vgpr10_vgpr11
	s_cbranch_vccnz .LBB0_472
; %bb.469:                              ;   in Loop: Header=BB0_347 Depth=4
	s_mov_b32 s5, exec_lo
	s_mov_b32 s4, exec_lo
	v_mbcnt_lo_u32_b32 v5, s5, 0
                                        ; implicit-def: $vgpr10_vgpr11
	s_wait_xcnt 0x0
	s_delay_alu instid0(VALU_DEP_1)
	v_cmpx_eq_u32_e32 0, v5
	s_cbranch_execz .LBB0_471
; %bb.470:                              ;   in Loop: Header=BB0_347 Depth=4
	s_bcnt1_i32_b32 s5, s5
	v_mov_b32_e32 v11, v4
	s_lshl_b32 s5, s5, 21
	s_delay_alu instid0(SALU_CYCLE_1)
	v_mov_b32_e32 v10, s5
	global_atomic_add_u64 v[10:11], v4, v[10:11], s[16:17] offset:108544 th:TH_ATOMIC_RETURN scope:SCOPE_DEV
.LBB0_471:                              ;   in Loop: Header=BB0_347 Depth=4
	s_wait_xcnt 0x0
	s_or_b32 exec_lo, exec_lo, s4
	s_wait_loadcnt 0x0
	v_readfirstlane_b32 s5, v11
	v_readfirstlane_b32 s4, v10
	s_delay_alu instid0(VALU_DEP_1) | instskip(NEXT) | instid1(VALU_DEP_1)
	v_mad_nc_u64_u32 v[10:11], 0x200000, v5, s[4:5]
	v_cmp_ge_u64_e64 s4, v[10:11], v[14:15]
.LBB0_472:                              ;   in Loop: Header=BB0_347 Depth=4
	s_wait_xcnt 0x0
	s_delay_alu instid0(VALU_DEP_1)
	s_and_saveexec_b32 s23, s4
	s_cbranch_execz .LBB0_501
; %bb.473:                              ;   in Loop: Header=BB0_347 Depth=4
	s_load_b64 s[6:7], s[8:9], 0x50
	v_readfirstlane_b32 s4, v82
	v_mov_b64_e32 v[10:11], 0
	s_delay_alu instid0(VALU_DEP_2)
	v_cmp_eq_u32_e64 s4, s4, v82
	s_and_saveexec_b32 s5, s4
	s_cbranch_execz .LBB0_479
; %bb.474:                              ;   in Loop: Header=BB0_347 Depth=4
	s_wait_kmcnt 0x0
	global_load_b64 v[24:25], v4, s[6:7] offset:24 scope:SCOPE_SYS
	s_wait_loadcnt 0x0
	global_inv scope:SCOPE_SYS
	s_clause 0x1
	global_load_b64 v[10:11], v4, s[6:7] offset:40
	global_load_b64 v[14:15], v4, s[6:7]
	s_mov_b32 s10, exec_lo
	s_wait_loadcnt 0x1
	v_and_b32_e32 v10, v10, v24
	v_and_b32_e32 v11, v11, v25
	s_delay_alu instid0(VALU_DEP_1) | instskip(SKIP_1) | instid1(VALU_DEP_1)
	v_mul_u64_e32 v[10:11], 24, v[10:11]
	s_wait_loadcnt 0x0
	v_add_nc_u64_e32 v[10:11], v[14:15], v[10:11]
	global_load_b64 v[22:23], v[10:11], off scope:SCOPE_SYS
	s_wait_xcnt 0x0
	s_wait_loadcnt 0x0
	global_atomic_cmpswap_b64 v[10:11], v4, v[22:25], s[6:7] offset:24 th:TH_ATOMIC_RETURN scope:SCOPE_SYS
	s_wait_loadcnt 0x0
	global_inv scope:SCOPE_SYS
	s_wait_xcnt 0x0
	v_cmpx_ne_u64_e64 v[10:11], v[24:25]
	s_cbranch_execz .LBB0_478
; %bb.475:                              ;   in Loop: Header=BB0_347 Depth=4
	s_mov_b32 s11, 0
.LBB0_476:                              ;   Parent Loop BB0_3 Depth=1
                                        ;     Parent Loop BB0_6 Depth=2
                                        ;       Parent Loop BB0_322 Depth=3
                                        ;         Parent Loop BB0_347 Depth=4
                                        ; =>        This Inner Loop Header: Depth=5
	s_sleep 1
	s_clause 0x1
	global_load_b64 v[14:15], v4, s[6:7] offset:40
	global_load_b64 v[18:19], v4, s[6:7]
	v_mov_b64_e32 v[24:25], v[10:11]
	s_wait_loadcnt 0x1
	s_delay_alu instid0(VALU_DEP_1) | instskip(SKIP_1) | instid1(VALU_DEP_1)
	v_and_b32_e32 v5, v14, v24
	s_wait_loadcnt 0x0
	v_mad_nc_u64_u32 v[10:11], v5, 24, v[18:19]
	s_delay_alu instid0(VALU_DEP_3) | instskip(NEXT) | instid1(VALU_DEP_1)
	v_and_b32_e32 v5, v15, v25
	v_mad_u32 v11, v5, 24, v11
	global_load_b64 v[22:23], v[10:11], off scope:SCOPE_SYS
	s_wait_xcnt 0x0
	s_wait_loadcnt 0x0
	global_atomic_cmpswap_b64 v[10:11], v4, v[22:25], s[6:7] offset:24 th:TH_ATOMIC_RETURN scope:SCOPE_SYS
	s_wait_loadcnt 0x0
	global_inv scope:SCOPE_SYS
	v_cmp_eq_u64_e32 vcc_lo, v[10:11], v[24:25]
	s_or_b32 s11, vcc_lo, s11
	s_wait_xcnt 0x0
	s_and_not1_b32 exec_lo, exec_lo, s11
	s_cbranch_execnz .LBB0_476
; %bb.477:                              ;   in Loop: Header=BB0_347 Depth=4
	s_or_b32 exec_lo, exec_lo, s11
.LBB0_478:                              ;   in Loop: Header=BB0_347 Depth=4
	s_delay_alu instid0(SALU_CYCLE_1)
	s_or_b32 exec_lo, exec_lo, s10
.LBB0_479:                              ;   in Loop: Header=BB0_347 Depth=4
	s_delay_alu instid0(SALU_CYCLE_1)
	s_or_b32 exec_lo, exec_lo, s5
	s_wait_kmcnt 0x0
	s_clause 0x1
	global_load_b64 v[14:15], v4, s[6:7] offset:40
	global_load_b128 v[22:25], v4, s[6:7]
	v_readfirstlane_b32 s10, v10
	v_readfirstlane_b32 s11, v11
	s_mov_b32 s5, exec_lo
	s_wait_loadcnt 0x1
	v_and_b32_e32 v18, s10, v14
	v_and_b32_e32 v19, s11, v15
	s_delay_alu instid0(VALU_DEP_1) | instskip(SKIP_1) | instid1(VALU_DEP_1)
	v_mul_u64_e32 v[10:11], 24, v[18:19]
	s_wait_loadcnt 0x0
	v_add_nc_u64_e32 v[14:15], v[22:23], v[10:11]
	s_wait_xcnt 0x0
	s_and_saveexec_b32 s12, s4
	s_cbranch_execz .LBB0_481
; %bb.480:                              ;   in Loop: Header=BB0_347 Depth=4
	v_dual_mov_b32 v10, s5 :: v_dual_mov_b32 v11, v4
	global_store_b128 v[14:15], v[10:13], off offset:8
.LBB0_481:                              ;   in Loop: Header=BB0_347 Depth=4
	s_wait_xcnt 0x0
	s_or_b32 exec_lo, exec_lo, s12
	v_lshlrev_b64_e32 v[18:19], 12, v[18:19]
	s_mov_b32 s14, s13
	s_mov_b32 s15, s13
	;; [unrolled: 1-line block ×3, first 2 shown]
	v_mov_b64_e32 v[66:67], s[14:15]
	v_mov_b64_e32 v[64:65], s[12:13]
	v_lshlrev_b32_e32 v10, 6, v82
	v_add_nc_u64_e32 v[28:29], v[24:25], v[18:19]
	v_dual_mov_b32 v18, v4 :: v_dual_mov_b32 v19, v4
	v_mov_b32_e32 v21, v4
	s_delay_alu instid0(VALU_DEP_3) | instskip(NEXT) | instid1(VALU_DEP_4)
	v_readfirstlane_b32 s44, v28
	v_readfirstlane_b32 s45, v29
	s_clause 0x3
	global_store_b128 v10, v[18:21], s[44:45]
	global_store_b128 v10, v[64:67], s[44:45] offset:16
	global_store_b128 v10, v[64:67], s[44:45] offset:32
	;; [unrolled: 1-line block ×3, first 2 shown]
	s_wait_xcnt 0x0
	s_and_saveexec_b32 s5, s4
	s_cbranch_execz .LBB0_489
; %bb.482:                              ;   in Loop: Header=BB0_347 Depth=4
	s_clause 0x1
	global_load_b64 v[66:67], v4, s[6:7] offset:32 scope:SCOPE_SYS
	global_load_b64 v[18:19], v4, s[6:7] offset:40
	s_mov_b32 s12, exec_lo
	v_dual_mov_b32 v64, s10 :: v_dual_mov_b32 v65, s11
	s_wait_loadcnt 0x0
	v_and_b32_e32 v19, s11, v19
	v_and_b32_e32 v18, s10, v18
	s_delay_alu instid0(VALU_DEP_1) | instskip(NEXT) | instid1(VALU_DEP_1)
	v_mul_u64_e32 v[18:19], 24, v[18:19]
	v_add_nc_u64_e32 v[18:19], v[22:23], v[18:19]
	global_store_b64 v[18:19], v[66:67], off
	global_wb scope:SCOPE_SYS
	s_wait_storecnt 0x0
	s_wait_xcnt 0x0
	global_atomic_cmpswap_b64 v[24:25], v4, v[64:67], s[6:7] offset:32 th:TH_ATOMIC_RETURN scope:SCOPE_SYS
	s_wait_loadcnt 0x0
	v_cmpx_ne_u64_e64 v[24:25], v[66:67]
	s_cbranch_execz .LBB0_485
; %bb.483:                              ;   in Loop: Header=BB0_347 Depth=4
	s_mov_b32 s14, 0
.LBB0_484:                              ;   Parent Loop BB0_3 Depth=1
                                        ;     Parent Loop BB0_6 Depth=2
                                        ;       Parent Loop BB0_322 Depth=3
                                        ;         Parent Loop BB0_347 Depth=4
                                        ; =>        This Inner Loop Header: Depth=5
	v_dual_mov_b32 v22, s10 :: v_dual_mov_b32 v23, s11
	s_sleep 1
	global_store_b64 v[18:19], v[24:25], off
	global_wb scope:SCOPE_SYS
	s_wait_storecnt 0x0
	s_wait_xcnt 0x0
	global_atomic_cmpswap_b64 v[22:23], v4, v[22:25], s[6:7] offset:32 th:TH_ATOMIC_RETURN scope:SCOPE_SYS
	s_wait_loadcnt 0x0
	v_cmp_eq_u64_e32 vcc_lo, v[22:23], v[24:25]
	v_mov_b64_e32 v[24:25], v[22:23]
	s_or_b32 s14, vcc_lo, s14
	s_delay_alu instid0(SALU_CYCLE_1)
	s_and_not1_b32 exec_lo, exec_lo, s14
	s_cbranch_execnz .LBB0_484
.LBB0_485:                              ;   in Loop: Header=BB0_347 Depth=4
	s_or_b32 exec_lo, exec_lo, s12
	global_load_b64 v[18:19], v4, s[6:7] offset:16
	s_mov_b32 s14, exec_lo
	s_mov_b32 s12, exec_lo
	v_mbcnt_lo_u32_b32 v5, s14, 0
	s_wait_xcnt 0x0
	s_delay_alu instid0(VALU_DEP_1)
	v_cmpx_eq_u32_e32 0, v5
	s_cbranch_execz .LBB0_487
; %bb.486:                              ;   in Loop: Header=BB0_347 Depth=4
	s_bcnt1_i32_b32 s14, s14
	s_delay_alu instid0(SALU_CYCLE_1)
	v_dual_mov_b32 v23, v4 :: v_dual_mov_b32 v22, s14
	global_wb scope:SCOPE_SYS
	s_wait_loadcnt 0x0
	s_wait_storecnt 0x0
	global_atomic_add_u64 v[18:19], v[22:23], off offset:8 scope:SCOPE_SYS
.LBB0_487:                              ;   in Loop: Header=BB0_347 Depth=4
	s_wait_xcnt 0x0
	s_or_b32 exec_lo, exec_lo, s12
	s_wait_loadcnt 0x0
	global_load_b64 v[22:23], v[18:19], off offset:16
	s_wait_loadcnt 0x0
	v_cmp_eq_u64_e32 vcc_lo, 0, v[22:23]
	s_cbranch_vccnz .LBB0_489
; %bb.488:                              ;   in Loop: Header=BB0_347 Depth=4
	global_load_b32 v18, v[18:19], off offset:24
	s_wait_xcnt 0x0
	v_mov_b32_e32 v19, v4
	s_wait_loadcnt 0x0
	v_readfirstlane_b32 s12, v18
	global_wb scope:SCOPE_SYS
	s_wait_storecnt 0x0
	global_store_b64 v[22:23], v[18:19], off scope:SCOPE_SYS
	s_and_b32 m0, s12, 0xffffff
	s_sendmsg sendmsg(MSG_INTERRUPT)
.LBB0_489:                              ;   in Loop: Header=BB0_347 Depth=4
	s_wait_xcnt 0x0
	s_or_b32 exec_lo, exec_lo, s5
	v_mov_b32_e32 v11, v4
	s_delay_alu instid0(VALU_DEP_1)
	v_add_nc_u64_e32 v[10:11], v[28:29], v[10:11]
.LBB0_490:                              ;   Parent Loop BB0_3 Depth=1
                                        ;     Parent Loop BB0_6 Depth=2
                                        ;       Parent Loop BB0_322 Depth=3
                                        ;         Parent Loop BB0_347 Depth=4
                                        ; =>        This Inner Loop Header: Depth=5
	v_mov_b32_e32 v5, 1
	s_and_saveexec_b32 s5, s4
	s_cbranch_execz .LBB0_492
; %bb.491:                              ;   in Loop: Header=BB0_490 Depth=5
	global_load_b32 v5, v[14:15], off offset:20 scope:SCOPE_SYS
	s_wait_loadcnt 0x0
	global_inv scope:SCOPE_SYS
	v_and_b32_e32 v5, 1, v5
.LBB0_492:                              ;   in Loop: Header=BB0_490 Depth=5
	s_wait_xcnt 0x0
	s_or_b32 exec_lo, exec_lo, s5
	s_delay_alu instid0(VALU_DEP_1)
	v_readfirstlane_b32 s5, v5
	s_cmp_eq_u32 s5, 0
	s_cbranch_scc1 .LBB0_494
; %bb.493:                              ;   in Loop: Header=BB0_490 Depth=5
	s_mov_b32 s5, 0
	s_sleep 1
	s_branch .LBB0_495
.LBB0_494:                              ;   in Loop: Header=BB0_490 Depth=5
	s_mov_b32 s5, -1
.LBB0_495:                              ;   in Loop: Header=BB0_490 Depth=5
	s_delay_alu instid0(SALU_CYCLE_1)
	s_and_not1_b32 vcc_lo, exec_lo, s5
	s_cbranch_vccnz .LBB0_490
; %bb.496:                              ;   in Loop: Header=BB0_347 Depth=4
	global_load_b64 v[10:11], v[10:11], off
	s_wait_xcnt 0x0
	s_and_saveexec_b32 s12, s4
	s_cbranch_execz .LBB0_500
; %bb.497:                              ;   in Loop: Header=BB0_347 Depth=4
	s_clause 0x2
	global_load_b64 v[14:15], v4, s[6:7] offset:40
	global_load_b64 v[66:67], v4, s[6:7] offset:24 scope:SCOPE_SYS
	global_load_b64 v[18:19], v4, s[6:7]
	s_wait_loadcnt 0x2
	v_readfirstlane_b32 s14, v14
	v_readfirstlane_b32 s15, v15
	s_add_nc_u64 s[4:5], s[14:15], 1
	s_delay_alu instid0(SALU_CYCLE_1) | instskip(NEXT) | instid1(SALU_CYCLE_1)
	s_add_nc_u64 s[10:11], s[4:5], s[10:11]
	s_cmp_eq_u64 s[10:11], 0
	s_cselect_b32 s5, s5, s11
	s_cselect_b32 s4, s4, s10
	s_delay_alu instid0(SALU_CYCLE_1) | instskip(SKIP_1) | instid1(SALU_CYCLE_1)
	v_dual_mov_b32 v65, s5 :: v_dual_mov_b32 v64, s4
	s_and_b64 s[10:11], s[4:5], s[14:15]
	s_mul_u64 s[10:11], s[10:11], 24
	s_wait_loadcnt 0x0
	v_add_nc_u64_e32 v[14:15], s[10:11], v[18:19]
	global_store_b64 v[14:15], v[66:67], off
	global_wb scope:SCOPE_SYS
	s_wait_storecnt 0x0
	s_wait_xcnt 0x0
	global_atomic_cmpswap_b64 v[24:25], v4, v[64:67], s[6:7] offset:24 th:TH_ATOMIC_RETURN scope:SCOPE_SYS
	s_wait_loadcnt 0x0
	v_cmp_ne_u64_e32 vcc_lo, v[24:25], v[66:67]
	s_and_b32 exec_lo, exec_lo, vcc_lo
	s_cbranch_execz .LBB0_500
; %bb.498:                              ;   in Loop: Header=BB0_347 Depth=4
	s_mov_b32 s10, 0
.LBB0_499:                              ;   Parent Loop BB0_3 Depth=1
                                        ;     Parent Loop BB0_6 Depth=2
                                        ;       Parent Loop BB0_322 Depth=3
                                        ;         Parent Loop BB0_347 Depth=4
                                        ; =>        This Inner Loop Header: Depth=5
	v_dual_mov_b32 v22, s4 :: v_dual_mov_b32 v23, s5
	s_sleep 1
	global_store_b64 v[14:15], v[24:25], off
	global_wb scope:SCOPE_SYS
	s_wait_storecnt 0x0
	s_wait_xcnt 0x0
	global_atomic_cmpswap_b64 v[18:19], v4, v[22:25], s[6:7] offset:24 th:TH_ATOMIC_RETURN scope:SCOPE_SYS
	s_wait_loadcnt 0x0
	v_cmp_eq_u64_e32 vcc_lo, v[18:19], v[24:25]
	v_mov_b64_e32 v[24:25], v[18:19]
	s_or_b32 s10, vcc_lo, s10
	s_delay_alu instid0(SALU_CYCLE_1)
	s_and_not1_b32 exec_lo, exec_lo, s10
	s_cbranch_execnz .LBB0_499
.LBB0_500:                              ;   in Loop: Header=BB0_347 Depth=4
	s_or_b32 exec_lo, exec_lo, s12
.LBB0_501:                              ;   in Loop: Header=BB0_347 Depth=4
	s_delay_alu instid0(SALU_CYCLE_1)
	s_or_b32 exec_lo, exec_lo, s23
.LBB0_502:                              ;   in Loop: Header=BB0_347 Depth=4
	s_delay_alu instid0(SALU_CYCLE_1) | instskip(SKIP_1) | instid1(VALU_DEP_1)
	s_or_b32 exec_lo, exec_lo, s22
	s_wait_loadcnt 0x0
	v_readfirstlane_b32 s6, v10
	s_delay_alu instid0(VALU_DEP_2)
	v_readfirstlane_b32 s7, v11
	s_cmp_eq_u64 s[6:7], 0
	s_cbranch_scc1 .LBB0_573
; %bb.503:                              ;   in Loop: Header=BB0_347 Depth=4
	global_load_b32 v5, v[48:49], off
	v_mbcnt_lo_u32_b32 v11, exec_lo, 0
	s_bcnt1_i32_b32 s4, exec_lo
	s_wait_loadcnt 0x0
	v_add_nc_u32_e32 v2, 31, v5
	s_delay_alu instid0(VALU_DEP_1) | instskip(SKIP_2) | instid1(SALU_CYCLE_1)
	v_lshrrev_b32_e32 v10, 5, v2
	s_wait_xcnt 0x0
	s_and_saveexec_b32 s5, s1
	s_xor_b32 s5, exec_lo, s5
	s_cbranch_execz .LBB0_511
; %bb.504:                              ;   in Loop: Header=BB0_347 Depth=4
	global_load_b32 v14, v[48:49], off offset:20
	s_mov_b32 s10, exec_lo
	s_wait_xcnt 0x0
	v_cmpx_lt_u32_e64 v11, v10
	s_cbranch_execz .LBB0_507
; %bb.505:                              ;   in Loop: Header=BB0_347 Depth=4
	v_dual_mov_b32 v3, v4 :: v_dual_lshlrev_b32 v2, 2, v11
	v_mov_b32_e32 v15, v11
	s_lshl_b32 s12, s4, 2
	s_mov_b32 s11, 0
	s_delay_alu instid0(VALU_DEP_2) | instskip(NEXT) | instid1(VALU_DEP_1)
	v_add_nc_u64_e32 v[2:3], s[6:7], v[2:3]
	v_add_nc_u64_e32 v[2:3], 16, v[2:3]
.LBB0_506:                              ;   Parent Loop BB0_3 Depth=1
                                        ;     Parent Loop BB0_6 Depth=2
                                        ;       Parent Loop BB0_322 Depth=3
                                        ;         Parent Loop BB0_347 Depth=4
                                        ; =>        This Inner Loop Header: Depth=5
	v_add_nc_u32_e32 v15, s4, v15
	global_store_b32 v[2:3], v4, off
	s_wait_xcnt 0x0
	v_add_nc_u64_e32 v[2:3], s[12:13], v[2:3]
	v_cmp_ge_u32_e32 vcc_lo, v15, v10
	s_or_b32 s11, vcc_lo, s11
	s_delay_alu instid0(SALU_CYCLE_1)
	s_and_not1_b32 exec_lo, exec_lo, s11
	s_cbranch_execnz .LBB0_506
.LBB0_507:                              ;   in Loop: Header=BB0_347 Depth=4
	s_or_b32 exec_lo, exec_lo, s10
	global_load_b32 v2, v[48:49], off offset:16
	s_mov_b32 s10, exec_lo
	s_wait_loadcnt 0x0
	v_mad_u32 v2, v14, v11, v2
	s_wait_xcnt 0x0
	s_delay_alu instid0(VALU_DEP_1)
	v_cmpx_lt_u32_e64 v2, v5
	s_cbranch_execz .LBB0_510
; %bb.508:                              ;   in Loop: Header=BB0_347 Depth=4
	v_mul_lo_u32 v3, v14, s4
	s_mov_b32 s11, 0
.LBB0_509:                              ;   Parent Loop BB0_3 Depth=1
                                        ;     Parent Loop BB0_6 Depth=2
                                        ;       Parent Loop BB0_322 Depth=3
                                        ;         Parent Loop BB0_347 Depth=4
                                        ; =>        This Inner Loop Header: Depth=5
	v_lshlrev_b32_e64 v14, v2, 1
	s_delay_alu instid0(VALU_DEP_2) | instskip(NEXT) | instid1(VALU_DEP_1)
	v_dual_lshrrev_b32 v15, 3, v2 :: v_dual_add_nc_u32 v2, v2, v3
	v_and_b32_e32 v15, 0x1ffffffc, v15
	s_delay_alu instid0(VALU_DEP_2)
	v_cmp_ge_u32_e32 vcc_lo, v2, v5
	global_store_b32 v15, v14, s[6:7] offset:16
	s_or_b32 s11, vcc_lo, s11
	s_wait_xcnt 0x0
	s_and_not1_b32 exec_lo, exec_lo, s11
	s_cbranch_execnz .LBB0_509
.LBB0_510:                              ;   in Loop: Header=BB0_347 Depth=4
	s_or_b32 exec_lo, exec_lo, s10
.LBB0_511:                              ;   in Loop: Header=BB0_347 Depth=4
	s_and_not1_saveexec_b32 s5, s5
	s_cbranch_execz .LBB0_516
; %bb.512:                              ;   in Loop: Header=BB0_347 Depth=4
	s_mov_b32 s10, exec_lo
	v_cmpx_lt_u32_e64 v11, v10
	s_cbranch_execz .LBB0_515
; %bb.513:                              ;   in Loop: Header=BB0_347 Depth=4
	global_load_b32 v14, v[48:49], off offset:24
	v_dual_mov_b32 v3, v4 :: v_dual_lshlrev_b32 v2, 2, v11
	v_mov_b32_e32 v15, v11
	s_lshl_b32 s12, s4, 2
	s_mov_b32 s11, 0
	s_delay_alu instid0(VALU_DEP_2) | instskip(NEXT) | instid1(VALU_DEP_1)
	v_add_nc_u64_e32 v[2:3], s[6:7], v[2:3]
	v_add_nc_u64_e32 v[2:3], 16, v[2:3]
.LBB0_514:                              ;   Parent Loop BB0_3 Depth=1
                                        ;     Parent Loop BB0_6 Depth=2
                                        ;       Parent Loop BB0_322 Depth=3
                                        ;         Parent Loop BB0_347 Depth=4
                                        ; =>        This Inner Loop Header: Depth=5
	v_add_nc_u32_e32 v15, s4, v15
	s_wait_loadcnt 0x0
	global_store_b32 v[2:3], v14, off
	s_wait_xcnt 0x0
	v_add_nc_u64_e32 v[2:3], s[12:13], v[2:3]
	v_cmp_ge_u32_e32 vcc_lo, v15, v10
	s_or_b32 s11, vcc_lo, s11
	s_delay_alu instid0(SALU_CYCLE_1)
	s_and_not1_b32 exec_lo, exec_lo, s11
	s_cbranch_execnz .LBB0_514
.LBB0_515:                              ;   in Loop: Header=BB0_347 Depth=4
	s_or_b32 exec_lo, exec_lo, s10
.LBB0_516:                              ;   in Loop: Header=BB0_347 Depth=4
	s_delay_alu instid0(SALU_CYCLE_1) | instskip(NEXT) | instid1(SALU_CYCLE_1)
	s_or_b32 exec_lo, exec_lo, s5
	s_mov_b32 s4, exec_lo
	v_cmpx_eq_u32_e32 0, v11
	s_cbranch_execz .LBB0_520
; %bb.517:                              ;   in Loop: Header=BB0_347 Depth=4
	s_and_saveexec_b32 s5, s0
	s_cbranch_execz .LBB0_519
; %bb.518:                              ;   in Loop: Header=BB0_347 Depth=4
	v_add_nc_u32_e32 v2, -1, v10
	global_load_b32 v3, v2, s[6:7] offset:16 scale_offset
	s_wait_loadcnt 0x0
	v_lshl_or_b32 v3, -1, v5, v3
	global_store_b32 v2, v3, s[6:7] offset:16 scale_offset
.LBB0_519:                              ;   in Loop: Header=BB0_347 Depth=4
	s_wait_xcnt 0x0
	s_or_b32 exec_lo, exec_lo, s5
	global_store_b128 v4, v[6:9], s[6:7]
.LBB0_520:                              ;   in Loop: Header=BB0_347 Depth=4
	s_wait_xcnt 0x0
	s_or_b32 exec_lo, exec_lo, s4
.LBB0_521:                              ;   Parent Loop BB0_3 Depth=1
                                        ;     Parent Loop BB0_6 Depth=2
                                        ;       Parent Loop BB0_322 Depth=3
                                        ;         Parent Loop BB0_347 Depth=4
                                        ; =>        This Inner Loop Header: Depth=5
	v_mov_b32_e32 v2, s25
	s_and_saveexec_b32 s4, s3
	s_cbranch_execz .LBB0_523
; %bb.522:                              ;   in Loop: Header=BB0_521 Depth=5
	global_load_b32 v2, v[30:31], off offset:2048 scope:SCOPE_DEV
.LBB0_523:                              ;   in Loop: Header=BB0_521 Depth=5
	s_wait_xcnt 0x0
	s_or_b32 exec_lo, exec_lo, s4
	s_wait_loadcnt 0x0
	v_readfirstlane_b32 s25, v2
	s_cmp_eq_u32 s25, 0x10100
	s_cbranch_scc1 .LBB0_537
; %bb.524:                              ;   in Loop: Header=BB0_521 Depth=5
	v_mov_b32_e32 v2, s42
	s_and_saveexec_b32 s4, s3
	s_cbranch_execz .LBB0_526
; %bb.525:                              ;   in Loop: Header=BB0_521 Depth=5
	global_load_b32 v2, v[38:39], off offset:4096 scope:SCOPE_DEV
.LBB0_526:                              ;   in Loop: Header=BB0_521 Depth=5
	s_wait_xcnt 0x0
	s_or_b32 exec_lo, exec_lo, s4
	s_wait_loadcnt 0x0
	v_readfirstlane_b32 s42, v2
	s_mov_b32 s10, -1
	s_mov_b32 s11, -1
                                        ; implicit-def: $sgpr4_sgpr5
	s_cmp_lg_u32 s25, s42
	s_cbranch_scc0 .LBB0_536
; %bb.527:                              ;   in Loop: Header=BB0_521 Depth=5
	v_dual_mov_b32 v2, 0 :: v_dual_mov_b32 v3, 0
	s_and_saveexec_b32 s4, s3
	s_cbranch_execz .LBB0_533
; %bb.528:                              ;   in Loop: Header=BB0_521 Depth=5
	v_mov_b64_e32 v[2:3], v[50:51]
	s_cmp_lt_u32 s25, 0x100
	s_mov_b32 s5, s25
	s_cbranch_scc1 .LBB0_530
; %bb.529:                              ;   in Loop: Header=BB0_521 Depth=5
	s_add_co_i32 s5, s25, 0xffffff00
	s_delay_alu instid0(SALU_CYCLE_1) | instskip(NEXT) | instid1(SALU_CYCLE_1)
	s_lshr_b32 s5, s5, 8
	v_mad_nc_u64_u32 v[2:3], s5, 24, v[32:33]
	s_and_b32 s5, s25, 0xff
	global_load_b64 v[2:3], v[2:3], off offset:10240 scope:SCOPE_DEV
.LBB0_530:                              ;   in Loop: Header=BB0_521 Depth=5
	s_wait_loadcnt 0x0
	s_delay_alu instid0(VALU_DEP_1)
	v_mad_nc_u64_u32 v[10:11], s5, 24, v[2:3]
	s_wait_xcnt 0x0
	v_dual_mov_b32 v14, s25 :: v_dual_mov_b32 v2, s6
	v_dual_mov_b32 v3, s7 :: v_dual_mov_b32 v5, v4
	global_store_b32 v4, v14, s[6:7] offset:4
	s_wait_xcnt 0x0
	global_atomic_cmpswap_b64 v[2:3], v[10:11], v[2:5], off offset:8 th:TH_ATOMIC_RETURN scope:SCOPE_DEV
	s_wait_loadcnt 0x0
	v_cmp_eq_u64_e32 vcc_lo, 0, v[2:3]
	s_wait_xcnt 0x0
	v_dual_mov_b32 v2, 0 :: v_dual_mov_b32 v3, 0
	s_and_saveexec_b32 s5, vcc_lo
	s_cbranch_execz .LBB0_532
; %bb.531:                              ;   in Loop: Header=BB0_521 Depth=5
	global_wb scope:SCOPE_DEV
	s_wait_storecnt 0x0
	global_atomic_add_u32 v[30:31], v83, off offset:2048 scope:SCOPE_DEV
	v_dual_mov_b32 v2, v11 :: v_dual_mov_b32 v3, v10
.LBB0_532:                              ;   in Loop: Header=BB0_521 Depth=5
	s_wait_xcnt 0x0
	s_or_b32 exec_lo, exec_lo, s5
.LBB0_533:                              ;   in Loop: Header=BB0_521 Depth=5
	s_delay_alu instid0(SALU_CYCLE_1) | instskip(NEXT) | instid1(VALU_DEP_1)
	s_or_b32 exec_lo, exec_lo, s4
	v_readfirstlane_b32 s4, v3
	v_readfirstlane_b32 s5, v2
	s_cmp_lg_u64 s[4:5], 0
	s_cbranch_scc1 .LBB0_535
; %bb.534:                              ;   in Loop: Header=BB0_521 Depth=5
	s_mov_b32 s11, 0
	s_sleep 2
.LBB0_535:                              ;   in Loop: Header=BB0_521 Depth=5
	s_mov_b32 s10, 0
.LBB0_536:                              ;   in Loop: Header=BB0_521 Depth=5
	s_mov_b32 s12, 0
	s_branch .LBB0_538
.LBB0_537:                              ;   in Loop: Header=BB0_521 Depth=5
	s_mov_b32 s12, -1
	s_mov_b32 s10, 0
	s_mov_b32 s11, -1
                                        ; implicit-def: $sgpr42
                                        ; implicit-def: $sgpr4_sgpr5
.LBB0_538:                              ;   in Loop: Header=BB0_521 Depth=5
	s_delay_alu instid0(SALU_CYCLE_1)
	s_and_b32 vcc_lo, exec_lo, s11
	s_cbranch_vccz .LBB0_521
; %bb.539:                              ;   in Loop: Header=BB0_347 Depth=4
	s_and_b32 vcc_lo, exec_lo, s12
	s_cbranch_vccnz .LBB0_572
; %bb.540:                              ;   in Loop: Header=BB0_347 Depth=4
	s_xor_b32 s10, s10, -1
	s_delay_alu instid0(SALU_CYCLE_1)
	s_and_b32 vcc_lo, exec_lo, s10
	s_mov_b32 s10, -1
	s_cbranch_vccz .LBB0_542
; %bb.541:                              ;   in Loop: Header=BB0_347 Depth=4
	s_mov_b32 s10, 0
.LBB0_542:                              ;   in Loop: Header=BB0_347 Depth=4
	v_mov_b64_e32 v[2:3], s[4:5]
	s_and_not1_b32 vcc_lo, exec_lo, s10
	s_mov_b32 s4, 0
	s_cbranch_vccnz .LBB0_574
; %bb.543:                              ;   in Loop: Header=BB0_347 Depth=4
	s_and_saveexec_b32 s25, s3
	s_cbranch_execz .LBB0_571
; %bb.544:                              ;   in Loop: Header=BB0_347 Depth=4
	s_load_b64 s[10:11], s[8:9], 0x50
	v_readfirstlane_b32 s4, v82
	v_mov_b64_e32 v[2:3], 0
	s_delay_alu instid0(VALU_DEP_2)
	v_cmp_eq_u32_e64 s4, s4, v82
	s_and_saveexec_b32 s5, s4
	s_cbranch_execz .LBB0_550
; %bb.545:                              ;   in Loop: Header=BB0_347 Depth=4
	s_wait_kmcnt 0x0
	global_load_b64 v[24:25], v4, s[10:11] offset:24 scope:SCOPE_SYS
	s_wait_loadcnt 0x0
	global_inv scope:SCOPE_SYS
	s_clause 0x1
	global_load_b64 v[2:3], v4, s[10:11] offset:40
	global_load_b64 v[10:11], v4, s[10:11]
	s_mov_b32 s12, exec_lo
	s_wait_loadcnt 0x1
	v_and_b32_e32 v2, v2, v24
	v_and_b32_e32 v3, v3, v25
	s_delay_alu instid0(VALU_DEP_1) | instskip(SKIP_1) | instid1(VALU_DEP_1)
	v_mul_u64_e32 v[2:3], 24, v[2:3]
	s_wait_loadcnt 0x0
	v_add_nc_u64_e32 v[2:3], v[10:11], v[2:3]
	global_load_b64 v[22:23], v[2:3], off scope:SCOPE_SYS
	s_wait_xcnt 0x0
	s_wait_loadcnt 0x0
	global_atomic_cmpswap_b64 v[2:3], v4, v[22:25], s[10:11] offset:24 th:TH_ATOMIC_RETURN scope:SCOPE_SYS
	s_wait_loadcnt 0x0
	global_inv scope:SCOPE_SYS
	s_wait_xcnt 0x0
	v_cmpx_ne_u64_e64 v[2:3], v[24:25]
	s_cbranch_execz .LBB0_549
; %bb.546:                              ;   in Loop: Header=BB0_347 Depth=4
	s_mov_b32 s14, 0
.LBB0_547:                              ;   Parent Loop BB0_3 Depth=1
                                        ;     Parent Loop BB0_6 Depth=2
                                        ;       Parent Loop BB0_322 Depth=3
                                        ;         Parent Loop BB0_347 Depth=4
                                        ; =>        This Inner Loop Header: Depth=5
	s_sleep 1
	s_clause 0x1
	global_load_b64 v[10:11], v4, s[10:11] offset:40
	global_load_b64 v[14:15], v4, s[10:11]
	v_mov_b64_e32 v[24:25], v[2:3]
	s_wait_loadcnt 0x1
	s_delay_alu instid0(VALU_DEP_1) | instskip(NEXT) | instid1(VALU_DEP_2)
	v_and_b32_e32 v2, v10, v24
	v_and_b32_e32 v5, v11, v25
	s_wait_loadcnt 0x0
	s_delay_alu instid0(VALU_DEP_2) | instskip(NEXT) | instid1(VALU_DEP_1)
	v_mad_nc_u64_u32 v[2:3], v2, 24, v[14:15]
	v_mad_u32 v3, v5, 24, v3
	global_load_b64 v[22:23], v[2:3], off scope:SCOPE_SYS
	s_wait_xcnt 0x0
	s_wait_loadcnt 0x0
	global_atomic_cmpswap_b64 v[2:3], v4, v[22:25], s[10:11] offset:24 th:TH_ATOMIC_RETURN scope:SCOPE_SYS
	s_wait_loadcnt 0x0
	global_inv scope:SCOPE_SYS
	v_cmp_eq_u64_e32 vcc_lo, v[2:3], v[24:25]
	s_or_b32 s14, vcc_lo, s14
	s_wait_xcnt 0x0
	s_and_not1_b32 exec_lo, exec_lo, s14
	s_cbranch_execnz .LBB0_547
; %bb.548:                              ;   in Loop: Header=BB0_347 Depth=4
	s_or_b32 exec_lo, exec_lo, s14
.LBB0_549:                              ;   in Loop: Header=BB0_347 Depth=4
	s_delay_alu instid0(SALU_CYCLE_1)
	s_or_b32 exec_lo, exec_lo, s12
.LBB0_550:                              ;   in Loop: Header=BB0_347 Depth=4
	s_delay_alu instid0(SALU_CYCLE_1)
	s_or_b32 exec_lo, exec_lo, s5
	s_wait_kmcnt 0x0
	s_clause 0x1
	global_load_b64 v[10:11], v4, s[10:11] offset:40
	global_load_b128 v[22:25], v4, s[10:11]
	v_readfirstlane_b32 s22, v2
	v_readfirstlane_b32 s23, v3
	s_mov_b32 s5, exec_lo
	s_wait_loadcnt 0x1
	v_and_b32_e32 v14, s22, v10
	v_and_b32_e32 v15, s23, v11
	s_delay_alu instid0(VALU_DEP_1) | instskip(SKIP_1) | instid1(VALU_DEP_1)
	v_mul_u64_e32 v[2:3], 24, v[14:15]
	s_wait_loadcnt 0x0
	v_add_nc_u64_e32 v[2:3], v[22:23], v[2:3]
	s_wait_xcnt 0x0
	s_and_saveexec_b32 s12, s4
	s_cbranch_execz .LBB0_552
; %bb.551:                              ;   in Loop: Header=BB0_347 Depth=4
	v_dual_mov_b32 v10, s5 :: v_dual_mov_b32 v11, v4
	global_store_b128 v[2:3], v[10:13], off offset:8
.LBB0_552:                              ;   in Loop: Header=BB0_347 Depth=4
	s_wait_xcnt 0x0
	s_or_b32 exec_lo, exec_lo, s12
	v_lshlrev_b64_e32 v[10:11], 12, v[14:15]
	s_mov_b32 s14, s13
	s_mov_b32 s15, s13
	;; [unrolled: 1-line block ×3, first 2 shown]
	v_mov_b64_e32 v[14:15], s[6:7]
	v_mov_b64_e32 v[66:67], s[14:15]
	;; [unrolled: 1-line block ×3, first 2 shown]
	v_add_nc_u64_e32 v[10:11], v[24:25], v[10:11]
	v_lshlrev_b32_e32 v5, 6, v82
	s_delay_alu instid0(VALU_DEP_2) | instskip(NEXT) | instid1(VALU_DEP_3)
	v_readfirstlane_b32 s6, v10
	v_readfirstlane_b32 s7, v11
	s_clause 0x4
	global_store_b64 v5, v[14:15], s[6:7]
	global_store_b128 v5, v[64:67], s[6:7] offset:8
	global_store_b128 v5, v[64:67], s[6:7] offset:24
	;; [unrolled: 1-line block ×3, first 2 shown]
	global_store_b64 v5, v[34:35], s[6:7] offset:56
	s_wait_xcnt 0x0
	s_and_saveexec_b32 s5, s4
	s_cbranch_execz .LBB0_560
; %bb.553:                              ;   in Loop: Header=BB0_347 Depth=4
	s_clause 0x1
	global_load_b64 v[66:67], v4, s[10:11] offset:32 scope:SCOPE_SYS
	global_load_b64 v[10:11], v4, s[10:11] offset:40
	s_mov_b32 s6, exec_lo
	v_dual_mov_b32 v64, s22 :: v_dual_mov_b32 v65, s23
	s_wait_loadcnt 0x0
	v_and_b32_e32 v11, s23, v11
	v_and_b32_e32 v10, s22, v10
	s_delay_alu instid0(VALU_DEP_1) | instskip(NEXT) | instid1(VALU_DEP_1)
	v_mul_u64_e32 v[10:11], 24, v[10:11]
	v_add_nc_u64_e32 v[10:11], v[22:23], v[10:11]
	global_store_b64 v[10:11], v[66:67], off
	global_wb scope:SCOPE_SYS
	s_wait_storecnt 0x0
	s_wait_xcnt 0x0
	global_atomic_cmpswap_b64 v[24:25], v4, v[64:67], s[10:11] offset:32 th:TH_ATOMIC_RETURN scope:SCOPE_SYS
	s_wait_loadcnt 0x0
	v_cmpx_ne_u64_e64 v[24:25], v[66:67]
	s_cbranch_execz .LBB0_556
; %bb.554:                              ;   in Loop: Header=BB0_347 Depth=4
	s_mov_b32 s7, 0
.LBB0_555:                              ;   Parent Loop BB0_3 Depth=1
                                        ;     Parent Loop BB0_6 Depth=2
                                        ;       Parent Loop BB0_322 Depth=3
                                        ;         Parent Loop BB0_347 Depth=4
                                        ; =>        This Inner Loop Header: Depth=5
	v_dual_mov_b32 v22, s22 :: v_dual_mov_b32 v23, s23
	s_sleep 1
	global_store_b64 v[10:11], v[24:25], off
	global_wb scope:SCOPE_SYS
	s_wait_storecnt 0x0
	s_wait_xcnt 0x0
	global_atomic_cmpswap_b64 v[14:15], v4, v[22:25], s[10:11] offset:32 th:TH_ATOMIC_RETURN scope:SCOPE_SYS
	s_wait_loadcnt 0x0
	v_cmp_eq_u64_e32 vcc_lo, v[14:15], v[24:25]
	v_mov_b64_e32 v[24:25], v[14:15]
	s_or_b32 s7, vcc_lo, s7
	s_delay_alu instid0(SALU_CYCLE_1)
	s_and_not1_b32 exec_lo, exec_lo, s7
	s_cbranch_execnz .LBB0_555
.LBB0_556:                              ;   in Loop: Header=BB0_347 Depth=4
	s_or_b32 exec_lo, exec_lo, s6
	global_load_b64 v[10:11], v4, s[10:11] offset:16
	s_mov_b32 s7, exec_lo
	s_mov_b32 s6, exec_lo
	v_mbcnt_lo_u32_b32 v5, s7, 0
	s_wait_xcnt 0x0
	s_delay_alu instid0(VALU_DEP_1)
	v_cmpx_eq_u32_e32 0, v5
	s_cbranch_execz .LBB0_558
; %bb.557:                              ;   in Loop: Header=BB0_347 Depth=4
	s_bcnt1_i32_b32 s7, s7
	s_delay_alu instid0(SALU_CYCLE_1)
	v_dual_mov_b32 v15, v4 :: v_dual_mov_b32 v14, s7
	global_wb scope:SCOPE_SYS
	s_wait_loadcnt 0x0
	s_wait_storecnt 0x0
	global_atomic_add_u64 v[10:11], v[14:15], off offset:8 scope:SCOPE_SYS
.LBB0_558:                              ;   in Loop: Header=BB0_347 Depth=4
	s_wait_xcnt 0x0
	s_or_b32 exec_lo, exec_lo, s6
	s_wait_loadcnt 0x0
	global_load_b64 v[14:15], v[10:11], off offset:16
	s_wait_loadcnt 0x0
	v_cmp_eq_u64_e32 vcc_lo, 0, v[14:15]
	s_cbranch_vccnz .LBB0_560
; %bb.559:                              ;   in Loop: Header=BB0_347 Depth=4
	global_load_b32 v10, v[10:11], off offset:24
	s_wait_xcnt 0x0
	v_mov_b32_e32 v11, v4
	s_wait_loadcnt 0x0
	v_readfirstlane_b32 s6, v10
	global_wb scope:SCOPE_SYS
	s_wait_storecnt 0x0
	global_store_b64 v[14:15], v[10:11], off scope:SCOPE_SYS
	s_and_b32 m0, s6, 0xffffff
	s_sendmsg sendmsg(MSG_INTERRUPT)
.LBB0_560:                              ;   in Loop: Header=BB0_347 Depth=4
	s_wait_xcnt 0x0
	s_or_b32 exec_lo, exec_lo, s5
.LBB0_561:                              ;   Parent Loop BB0_3 Depth=1
                                        ;     Parent Loop BB0_6 Depth=2
                                        ;       Parent Loop BB0_322 Depth=3
                                        ;         Parent Loop BB0_347 Depth=4
                                        ; =>        This Inner Loop Header: Depth=5
	v_mov_b32_e32 v5, 1
	s_and_saveexec_b32 s5, s4
	s_cbranch_execz .LBB0_563
; %bb.562:                              ;   in Loop: Header=BB0_561 Depth=5
	global_load_b32 v5, v[2:3], off offset:20 scope:SCOPE_SYS
	s_wait_loadcnt 0x0
	global_inv scope:SCOPE_SYS
	v_and_b32_e32 v5, 1, v5
.LBB0_563:                              ;   in Loop: Header=BB0_561 Depth=5
	s_wait_xcnt 0x0
	s_or_b32 exec_lo, exec_lo, s5
	s_delay_alu instid0(VALU_DEP_1)
	v_readfirstlane_b32 s5, v5
	s_cmp_eq_u32 s5, 0
	s_cbranch_scc1 .LBB0_565
; %bb.564:                              ;   in Loop: Header=BB0_561 Depth=5
	s_mov_b32 s5, 0
	s_sleep 1
	s_branch .LBB0_566
.LBB0_565:                              ;   in Loop: Header=BB0_561 Depth=5
	s_mov_b32 s5, -1
.LBB0_566:                              ;   in Loop: Header=BB0_561 Depth=5
	s_delay_alu instid0(SALU_CYCLE_1)
	s_and_not1_b32 vcc_lo, exec_lo, s5
	s_cbranch_vccnz .LBB0_561
; %bb.567:                              ;   in Loop: Header=BB0_347 Depth=4
	s_and_b32 exec_lo, exec_lo, s4
	s_cbranch_execz .LBB0_571
; %bb.568:                              ;   in Loop: Header=BB0_347 Depth=4
	s_clause 0x2
	global_load_b64 v[2:3], v4, s[10:11] offset:40
	global_load_b64 v[66:67], v4, s[10:11] offset:24 scope:SCOPE_SYS
	global_load_b64 v[10:11], v4, s[10:11]
	s_wait_loadcnt 0x2
	v_readfirstlane_b32 s6, v2
	v_readfirstlane_b32 s7, v3
	s_add_nc_u64 s[4:5], s[6:7], 1
	s_delay_alu instid0(SALU_CYCLE_1) | instskip(NEXT) | instid1(SALU_CYCLE_1)
	s_add_nc_u64 s[14:15], s[4:5], s[22:23]
	s_cmp_eq_u64 s[14:15], 0
	s_cselect_b32 s5, s5, s15
	s_cselect_b32 s4, s4, s14
	s_delay_alu instid0(SALU_CYCLE_1) | instskip(SKIP_1) | instid1(SALU_CYCLE_1)
	v_dual_mov_b32 v65, s5 :: v_dual_mov_b32 v64, s4
	s_and_b64 s[6:7], s[4:5], s[6:7]
	s_mul_u64 s[6:7], s[6:7], 24
	s_wait_loadcnt 0x0
	v_add_nc_u64_e32 v[2:3], s[6:7], v[10:11]
	global_store_b64 v[2:3], v[66:67], off
	global_wb scope:SCOPE_SYS
	s_wait_storecnt 0x0
	s_wait_xcnt 0x0
	global_atomic_cmpswap_b64 v[24:25], v4, v[64:67], s[10:11] offset:24 th:TH_ATOMIC_RETURN scope:SCOPE_SYS
	s_wait_loadcnt 0x0
	v_cmp_ne_u64_e32 vcc_lo, v[24:25], v[66:67]
	s_and_b32 exec_lo, exec_lo, vcc_lo
	s_cbranch_execz .LBB0_571
; %bb.569:                              ;   in Loop: Header=BB0_347 Depth=4
	s_mov_b32 s6, 0
.LBB0_570:                              ;   Parent Loop BB0_3 Depth=1
                                        ;     Parent Loop BB0_6 Depth=2
                                        ;       Parent Loop BB0_322 Depth=3
                                        ;         Parent Loop BB0_347 Depth=4
                                        ; =>        This Inner Loop Header: Depth=5
	v_dual_mov_b32 v22, s4 :: v_dual_mov_b32 v23, s5
	s_sleep 1
	global_store_b64 v[2:3], v[24:25], off
	global_wb scope:SCOPE_SYS
	s_wait_storecnt 0x0
	s_wait_xcnt 0x0
	global_atomic_cmpswap_b64 v[10:11], v4, v[22:25], s[10:11] offset:24 th:TH_ATOMIC_RETURN scope:SCOPE_SYS
	s_wait_loadcnt 0x0
	v_cmp_eq_u64_e32 vcc_lo, v[10:11], v[24:25]
	v_mov_b64_e32 v[24:25], v[10:11]
	s_or_b32 s6, vcc_lo, s6
	s_delay_alu instid0(SALU_CYCLE_1)
	s_and_not1_b32 exec_lo, exec_lo, s6
	s_cbranch_execnz .LBB0_570
.LBB0_571:                              ;   in Loop: Header=BB0_347 Depth=4
	s_or_b32 exec_lo, exec_lo, s25
	v_mov_b64_e32 v[2:3], v[26:27]
	s_mov_b32 s4, -1
	s_branch .LBB0_574
.LBB0_572:                              ;   in Loop: Header=BB0_347 Depth=4
	v_mov_b64_e32 v[2:3], 0
.LBB0_573:                              ;   in Loop: Header=BB0_347 Depth=4
	s_mov_b32 s4, 0
.LBB0_574:                              ;   in Loop: Header=BB0_347 Depth=4
	s_delay_alu instid0(VALU_DEP_1)
	v_mov_b64_e32 v[26:27], v[2:3]
.LBB0_575:                              ;   in Loop: Header=BB0_347 Depth=4
	s_xor_b32 s4, s4, -1
	s_delay_alu instid0(SALU_CYCLE_1)
	s_and_not1_b32 vcc_lo, exec_lo, s4
	s_cbranch_vccnz .LBB0_347
; %bb.576:                              ;   in Loop: Header=BB0_322 Depth=3
	s_delay_alu instid0(VALU_DEP_1)
	v_cmp_ne_u64_e64 s3, 1, v[26:27]
	s_and_b32 vcc_lo, exec_lo, s3
	s_cbranch_vccz .LBB0_579
; %bb.577:                              ;   in Loop: Header=BB0_322 Depth=3
	v_mov_b64_e32 v[52:53], v[26:27]
	s_branch .LBB0_599
.LBB0_578:                              ;   in Loop: Header=BB0_322 Depth=3
                                        ; implicit-def: $sgpr41
	s_branch .LBB0_599
.LBB0_579:                              ;   in Loop: Header=BB0_322 Depth=3
	v_mbcnt_lo_u32_b32 v2, exec_lo, 0
	s_mov_b32 s10, exec_lo
	s_delay_alu instid0(VALU_DEP_1)
	v_cmpx_eq_u32_e32 0, v2
	s_cbranch_execz .LBB0_596
; %bb.580:                              ;   in Loop: Header=BB0_322 Depth=3
	global_load_b64 v[2:3], v[38:39], off offset:6144 scope:SCOPE_DEV
	s_sendmsg_rtn_b64 s[4:5], sendmsg(MSG_RTN_GET_REALTIME)
	s_wait_loadcnt 0x0
	s_wait_kmcnt 0x0
	v_sub_nc_u64_e32 v[2:3], s[4:5], v[2:3]
	s_delay_alu instid0(VALU_DEP_1)
	v_cmp_gt_u64_e32 vcc_lo, 0x4e20, v[2:3]
	s_wait_xcnt 0x0
	s_and_b32 exec_lo, exec_lo, vcc_lo
	s_cbranch_execz .LBB0_596
; %bb.581:                              ;   in Loop: Header=BB0_322 Depth=3
	v_readfirstlane_b32 s4, v2
	s_sendmsg_rtn_b64 s[6:7], sendmsg(MSG_RTN_GET_REALTIME)
	s_sub_co_i32 s12, 0x4e20, s4
	s_wait_kmcnt 0x0
	s_add_nc_u64 s[4:5], s[12:13], s[6:7]
.LBB0_582:                              ;   Parent Loop BB0_3 Depth=1
                                        ;     Parent Loop BB0_6 Depth=2
                                        ;       Parent Loop BB0_322 Depth=3
                                        ; =>      This Inner Loop Header: Depth=4
	s_wait_kmcnt 0x0
	s_add_nc_u64 s[14:15], s[6:7], 0x659
	s_delay_alu instid0(SALU_CYCLE_1)
	v_cmp_le_u64_e64 s11, s[4:5], s[14:15]
	s_and_b32 vcc_lo, exec_lo, s11
	s_cbranch_vccnz .LBB0_585
; %bb.583:                              ;   in Loop: Header=BB0_582 Depth=4
	s_sleep 0x7f
	s_sendmsg_rtn_b64 s[6:7], sendmsg(MSG_RTN_GET_REALTIME)
	s_branch .LBB0_582
.LBB0_584:                              ;   in Loop: Header=BB0_585 Depth=4
	s_sleep 63
	s_sendmsg_rtn_b64 s[6:7], sendmsg(MSG_RTN_GET_REALTIME)
.LBB0_585:                              ;   Parent Loop BB0_3 Depth=1
                                        ;     Parent Loop BB0_6 Depth=2
                                        ;       Parent Loop BB0_322 Depth=3
                                        ; =>      This Inner Loop Header: Depth=4
	s_wait_kmcnt 0x0
	s_add_nc_u64 s[14:15], s[6:7], 0x326
	s_delay_alu instid0(SALU_CYCLE_1)
	v_cmp_le_u64_e64 s11, s[4:5], s[14:15]
	s_and_b32 vcc_lo, exec_lo, s11
	s_cbranch_vccz .LBB0_584
; %bb.586:                              ;   in Loop: Header=BB0_322 Depth=3
	s_add_nc_u64 s[14:15], s[6:7], 0x18c
	s_delay_alu instid0(SALU_CYCLE_1)
	v_cmp_le_u64_e64 s11, s[4:5], s[14:15]
	s_and_b32 vcc_lo, exec_lo, s11
	s_cbranch_vccnz .LBB0_589
.LBB0_587:                              ;   Parent Loop BB0_3 Depth=1
                                        ;     Parent Loop BB0_6 Depth=2
                                        ;       Parent Loop BB0_322 Depth=3
                                        ; =>      This Inner Loop Header: Depth=4
	s_sleep 31
	s_sendmsg_rtn_b64 s[6:7], sendmsg(MSG_RTN_GET_REALTIME)
	s_wait_kmcnt 0x0
	s_add_nc_u64 s[14:15], s[6:7], 0x18c
	s_delay_alu instid0(SALU_CYCLE_1)
	v_cmp_gt_u64_e64 s11, s[4:5], s[14:15]
	s_and_b32 vcc_lo, exec_lo, s11
	s_cbranch_vccnz .LBB0_587
	s_branch .LBB0_589
.LBB0_588:                              ;   in Loop: Header=BB0_589 Depth=4
	s_sleep 15
	s_sendmsg_rtn_b64 s[6:7], sendmsg(MSG_RTN_GET_REALTIME)
.LBB0_589:                              ;   Parent Loop BB0_3 Depth=1
                                        ;     Parent Loop BB0_6 Depth=2
                                        ;       Parent Loop BB0_322 Depth=3
                                        ; =>      This Inner Loop Header: Depth=4
	s_wait_kmcnt 0x0
	s_add_nc_u64 s[14:15], s[6:7], 0xc0
	s_delay_alu instid0(SALU_CYCLE_1)
	v_cmp_le_u64_e64 s11, s[4:5], s[14:15]
	s_and_b32 vcc_lo, exec_lo, s11
	s_cbranch_vccz .LBB0_588
	s_branch .LBB0_591
.LBB0_590:                              ;   in Loop: Header=BB0_591 Depth=4
	s_sleep 7
	s_sendmsg_rtn_b64 s[6:7], sendmsg(MSG_RTN_GET_REALTIME)
.LBB0_591:                              ;   Parent Loop BB0_3 Depth=1
                                        ;     Parent Loop BB0_6 Depth=2
                                        ;       Parent Loop BB0_322 Depth=3
                                        ; =>      This Inner Loop Header: Depth=4
	s_wait_kmcnt 0x0
	s_add_nc_u64 s[14:15], s[6:7], 0x59
	s_delay_alu instid0(SALU_CYCLE_1)
	v_cmp_le_u64_e64 s11, s[4:5], s[14:15]
	s_and_b32 vcc_lo, exec_lo, s11
	s_cbranch_vccz .LBB0_590
	;; [unrolled: 14-line block ×3, first 2 shown]
; %bb.594:                              ;   in Loop: Header=BB0_322 Depth=3
	v_cmp_le_u64_e64 s6, s[4:5], s[6:7]
	s_and_b32 vcc_lo, exec_lo, s6
	s_cbranch_vccnz .LBB0_596
.LBB0_595:                              ;   Parent Loop BB0_3 Depth=1
                                        ;     Parent Loop BB0_6 Depth=2
                                        ;       Parent Loop BB0_322 Depth=3
                                        ; =>      This Inner Loop Header: Depth=4
	s_sleep 1
	s_sendmsg_rtn_b64 s[6:7], sendmsg(MSG_RTN_GET_REALTIME)
	s_wait_kmcnt 0x0
	v_cmp_gt_u64_e64 s6, s[4:5], s[6:7]
	s_and_b32 vcc_lo, exec_lo, s6
	s_cbranch_vccnz .LBB0_595
.LBB0_596:                              ;   in Loop: Header=BB0_322 Depth=3
	s_or_b32 exec_lo, exec_lo, s10
	v_mov_b32_e32 v2, s41
	s_and_saveexec_b32 s4, s2
	s_cbranch_execz .LBB0_598
; %bb.597:                              ;   in Loop: Header=BB0_322 Depth=3
	global_load_b32 v2, v[30:31], off offset:2048 scope:SCOPE_DEV
.LBB0_598:                              ;   in Loop: Header=BB0_322 Depth=3
	s_wait_xcnt 0x0
	s_or_b32 exec_lo, exec_lo, s4
	s_wait_loadcnt 0x0
	v_readfirstlane_b32 s41, v2
.LBB0_599:                              ;   in Loop: Header=BB0_322 Depth=3
	s_and_b32 vcc_lo, exec_lo, s3
	s_cbranch_vccz .LBB0_322
.LBB0_600:                              ;   in Loop: Header=BB0_6 Depth=2
	s_delay_alu instid0(VALU_DEP_1) | instskip(NEXT) | instid1(VALU_DEP_2)
	v_readfirstlane_b32 s4, v52
	v_readfirstlane_b32 s5, v53
	s_cmp_eq_u64 s[4:5], 0
	s_cbranch_scc1 .LBB0_621
; %bb.601:                              ;   in Loop: Header=BB0_6 Depth=2
	v_mov_b32_e32 v10, 0
	s_mov_b32 s6, exec_lo
	s_delay_alu instid0(SALU_CYCLE_1)
	v_mbcnt_lo_u32_b32 v5, s6, 0
	global_load_b64 v[0:1], v10, s[4:5] offset:8 scope:SCOPE_DEV
	v_cmp_eq_u32_e32 vcc_lo, 0, v5
	s_wait_loadcnt 0x0
	global_load_b32 v2, v[0:1], off
	s_wait_loadcnt 0x0
	v_readfirstlane_b32 s12, v2
	s_wait_xcnt 0x0
	s_and_saveexec_b32 s3, vcc_lo
	s_cbranch_execz .LBB0_605
; %bb.602:                              ;   in Loop: Header=BB0_6 Depth=2
	s_mov_b32 s10, exec_lo
	s_bcnt1_i32_b32 s6, s6
	v_mbcnt_lo_u32_b32 v2, s10, 0
	s_mov_b32 s7, exec_lo
                                        ; implicit-def: $vgpr3
	s_delay_alu instid0(VALU_DEP_1)
	v_cmpx_eq_u32_e32 0, v2
	s_cbranch_execz .LBB0_604
; %bb.603:                              ;   in Loop: Header=BB0_6 Depth=2
	s_bcnt1_i32_b32 s2, s10
	s_delay_alu instid0(SALU_CYCLE_1) | instskip(NEXT) | instid1(SALU_CYCLE_1)
	s_mul_i32 s2, s6, s2
	v_mov_b32_e32 v3, s2
	global_atomic_add_u32 v3, v[0:1], v3, off offset:8 th:TH_ATOMIC_RETURN scope:SCOPE_DEV
.LBB0_604:                              ;   in Loop: Header=BB0_6 Depth=2
	s_wait_xcnt 0x0
	s_or_b32 exec_lo, exec_lo, s7
	s_wait_loadcnt 0x0
	v_readfirstlane_b32 s2, v3
	s_delay_alu instid0(VALU_DEP_1)
	v_mad_u32_u24 v10, s6, v2, s2
.LBB0_605:                              ;   in Loop: Header=BB0_6 Depth=2
	s_or_b32 exec_lo, exec_lo, s3
	s_mul_u64 s[2:3], s[12:13], 28
	v_mov_b64_e32 v[2:3], 0
	s_add_nc_u64 s[6:7], s[18:19], s[2:3]
	v_readfirstlane_b32 s10, v10
	s_load_b32 s3, s[6:7], 0x0
	s_wait_kmcnt 0x0
	s_add_co_i32 s2, s3, 31
	s_delay_alu instid0(SALU_CYCLE_1)
	s_cmp_lt_u32 s2, 32
	s_cbranch_scc1 .LBB0_615
; %bb.606:                              ;   in Loop: Header=BB0_6 Depth=2
	s_cvt_f32_u32 s11, s3
	s_sub_co_i32 s14, 0, s3
	s_mov_b32 s15, 0
	s_delay_alu instid0(SALU_CYCLE_1) | instskip(SKIP_1) | instid1(TRANS32_DEP_1)
	v_rcp_iflag_f32_e32 v2, s11
	v_nop
	v_readfirstlane_b32 s11, v2
	v_add_lshl_u32 v2, s10, v5, 5
	s_mul_f32 s11, s11, 0x4f7ffffe
	s_delay_alu instid0(SALU_CYCLE_3) | instskip(NEXT) | instid1(SALU_CYCLE_3)
	s_cvt_u32_f32 s11, s11
	s_mul_i32 s14, s14, s11
	s_delay_alu instid0(SALU_CYCLE_1)
	s_mul_hi_u32 s10, s11, s14
	s_lshr_b32 s14, s2, 5
	s_add_co_i32 s11, s11, s10
	s_cvt_f32_u32 s2, s14
	v_mul_hi_u32 v3, v2, s11
	s_lshr_b32 s10, s12, 1
	s_bfe_i32 s11, s12, 0x10000
	s_add_co_i32 s10, s10, 4
	s_sub_co_i32 s22, 0, s14
	s_lshl_b32 s10, 1, s10
	s_delay_alu instid0(VALU_DEP_1) | instskip(NEXT) | instid1(VALU_DEP_1)
	v_mul_lo_u32 v3, v3, s3
	v_sub_nc_u32_e32 v2, v2, v3
	v_rcp_iflag_f32_e32 v3, s2
	s_delay_alu instid0(VALU_DEP_1) | instskip(SKIP_1) | instid1(TRANS32_DEP_1)
	v_subrev_nc_u32_e32 v5, s3, v2
	v_cmp_le_u32_e64 s2, s3, v2
	v_readfirstlane_b32 s12, v3
	s_delay_alu instid0(VALU_DEP_2) | instskip(SKIP_3) | instid1(VALU_DEP_2)
	v_cndmask_b32_e64 v5, v2, v5, s2
	v_mov_b64_e32 v[2:3], 0
	s_mul_f32 s2, s12, 0x4f7ffffe
	s_add_co_i32 s12, s14, -1
	v_subrev_nc_u32_e32 v10, s3, v5
	s_delay_alu instid0(SALU_CYCLE_1) | instskip(SKIP_1) | instid1(SALU_CYCLE_2)
	s_cvt_u32_f32 s23, s2
	v_cmp_le_u32_e64 s2, s3, v5
	s_mul_i32 s22, s22, s23
	v_cndmask_b32_e64 v5, v5, v10, s2
	s_lshr_b32 s2, s10, 1
	s_mul_hi_u32 s3, s23, s22
	s_and_b32 s2, s11, s2
	s_mov_b32 s11, s13
	v_dual_mov_b32 v5, s12 :: v_dual_lshrrev_b32 v10, 5, v5
	s_add_co_i32 s22, s2, s10
	s_add_co_i32 s10, s23, s3
.LBB0_607:                              ;   Parent Loop BB0_3 Depth=1
                                        ;     Parent Loop BB0_6 Depth=2
                                        ; =>    This Inner Loop Header: Depth=3
	v_readfirstlane_b32 s2, v0
	v_readfirstlane_b32 s3, v1
	s_mov_b32 s12, -1
	s_mov_b32 s23, exec_lo
                                        ; implicit-def: $vgpr11
	global_load_b32 v14, v10, s[2:3] offset:16 scale_offset scope:SCOPE_DEV
	s_wait_loadcnt 0x0
	v_cmpx_ne_u32_e32 -1, v14
	s_cbranch_execz .LBB0_611
; %bb.608:                              ;   in Loop: Header=BB0_607 Depth=3
	v_not_b32_e32 v14, v14
	v_mov_b32_e32 v11, v4
	s_mov_b32 s24, exec_lo
	s_delay_alu instid0(VALU_DEP_2) | instskip(NEXT) | instid1(VALU_DEP_2)
	v_ctz_i32_b32_e32 v14, v14
	v_lshl_add_u64 v[18:19], v[10:11], 2, v[0:1]
	s_delay_alu instid0(VALU_DEP_2) | instskip(SKIP_3) | instid1(VALU_DEP_1)
	v_lshlrev_b32_e64 v11, v14, 1
	global_atomic_or_b32 v15, v[18:19], v11, off offset:16 th:TH_ATOMIC_RETURN scope:SCOPE_DEV
	s_wait_loadcnt 0x0
	v_dual_mov_b32 v11, 0 :: v_dual_bitop2_b32 v15, v15, v11 bitop3:0x40
	v_cmp_ne_u32_e64 s2, 0, v15
	v_cmpx_eq_u32_e32 0, v15
	s_cbranch_execz .LBB0_610
; %bb.609:                              ;   in Loop: Header=BB0_607 Depth=3
	s_load_b32 s12, s[6:7], 0xc
	v_lshl_or_b32 v2, v10, 5, v14
	v_dual_mov_b32 v3, v4 :: v_dual_mov_b32 v11, 2
	s_delay_alu instid0(VALU_DEP_2) | instskip(SKIP_2) | instid1(VALU_DEP_1)
	v_mul_lo_u32 v2, v2, s22
	s_wait_kmcnt 0x0
	v_add_nc_u64_e32 v[14:15], s[12:13], v[0:1]
	v_add_nc_u64_e32 v[2:3], v[14:15], v[2:3]
.LBB0_610:                              ;   in Loop: Header=BB0_607 Depth=3
	s_or_b32 exec_lo, exec_lo, s24
	s_delay_alu instid0(SALU_CYCLE_1)
	s_or_not1_b32 s12, s2, exec_lo
.LBB0_611:                              ;   in Loop: Header=BB0_607 Depth=3
	s_or_b32 exec_lo, exec_lo, s23
	s_and_saveexec_b32 s3, s12
	s_cbranch_execz .LBB0_613
; %bb.612:                              ;   in Loop: Header=BB0_607 Depth=3
	v_dual_mov_b32 v11, v4 :: v_dual_add_nc_u32 v10, 1, v10
	s_delay_alu instid0(VALU_DEP_1) | instskip(NEXT) | instid1(VALU_DEP_1)
	v_mul_u64_e32 v[14:15], s[10:11], v[10:11]
	v_mul_lo_u32 v11, v15, s14
	s_delay_alu instid0(VALU_DEP_1) | instskip(NEXT) | instid1(VALU_DEP_1)
	v_sub_nc_u32_e32 v10, v10, v11
	v_subrev_nc_u32_e32 v11, s14, v10
	v_cmp_le_u32_e64 s2, s14, v10
	s_delay_alu instid0(VALU_DEP_1) | instskip(NEXT) | instid1(VALU_DEP_1)
	v_cndmask_b32_e64 v10, v10, v11, s2
	v_subrev_nc_u32_e32 v11, s14, v10
	v_cmp_le_u32_e64 s2, s14, v10
	s_delay_alu instid0(VALU_DEP_1)
	v_dual_cndmask_b32 v10, v10, v11, s2 :: v_dual_mov_b32 v11, 0
.LBB0_613:                              ;   in Loop: Header=BB0_607 Depth=3
	s_or_b32 exec_lo, exec_lo, s3
	s_delay_alu instid0(VALU_DEP_1) | instskip(SKIP_2) | instid1(SALU_CYCLE_1)
	v_cmp_ne_u32_e64 s2, 0, v11
	v_sub_co_u32 v5, s3, v5, 1
	s_or_b32 s2, s2, s3
	s_and_b32 s2, exec_lo, s2
	s_delay_alu instid0(SALU_CYCLE_1) | instskip(NEXT) | instid1(SALU_CYCLE_1)
	s_or_b32 s15, s2, s15
	s_and_not1_b32 exec_lo, exec_lo, s15
	s_cbranch_execnz .LBB0_607
; %bb.614:                              ;   in Loop: Header=BB0_6 Depth=2
	s_or_b32 exec_lo, exec_lo, s15
.LBB0_615:                              ;   in Loop: Header=BB0_6 Depth=2
	v_cmp_ne_u64_e64 s2, 0, v[2:3]
	s_and_saveexec_b32 s3, vcc_lo
	s_cbranch_execz .LBB0_618
; %bb.616:                              ;   in Loop: Header=BB0_6 Depth=2
	s_mov_b32 s6, exec_lo
	s_delay_alu instid0(SALU_CYCLE_1) | instskip(NEXT) | instid1(VALU_DEP_1)
	v_mbcnt_lo_u32_b32 v0, s6, 0
	v_cmp_eq_u32_e32 vcc_lo, 0, v0
	s_and_b32 s7, exec_lo, vcc_lo
	s_delay_alu instid0(SALU_CYCLE_1)
	s_mov_b32 exec_lo, s7
	s_cbranch_execz .LBB0_618
; %bb.617:                              ;   in Loop: Header=BB0_6 Depth=2
	s_bcnt1_i32_b32 s2, s2
	s_bcnt1_i32_b32 s6, s6
	s_delay_alu instid0(SALU_CYCLE_1) | instskip(NEXT) | instid1(SALU_CYCLE_1)
	s_mul_i32 s2, s2, s6
	v_mov_b32_e32 v0, s2
	global_atomic_add_u32 v4, v0, s[4:5] offset:16 scope:SCOPE_DEV
.LBB0_618:                              ;   in Loop: Header=BB0_6 Depth=2
	s_wait_xcnt 0x0
	s_or_b32 exec_lo, exec_lo, s3
	v_mov_b64_e32 v[0:1], 0
	v_mov_b32_e32 v5, 1
	s_mov_b32 s2, -1
	s_mov_b32 s3, exec_lo
	v_cmpx_ne_u64_e32 0, v[2:3]
; %bb.619:                              ;   in Loop: Header=BB0_6 Depth=2
	v_mov_b64_e32 v[0:1], v[2:3]
	v_dual_mov_b32 v5, 0 :: v_dual_mov_b32 v85, 0
	s_xor_b32 s2, exec_lo, -1
; %bb.620:                              ;   in Loop: Header=BB0_6 Depth=2
	s_or_b32 exec_lo, exec_lo, s3
	s_branch .LBB0_622
.LBB0_621:                              ;   in Loop: Header=BB0_6 Depth=2
	v_dual_mov_b32 v5, 0 :: v_dual_mov_b32 v85, 0
	s_mov_b32 s2, 0
.LBB0_622:                              ;   in Loop: Header=BB0_6 Depth=2
	s_delay_alu instid0(SALU_CYCLE_1)
	s_and_b32 s2, s2, exec_lo
.LBB0_623:                              ;   in Loop: Header=BB0_6 Depth=2
	s_or_b32 exec_lo, exec_lo, s40
	v_cndmask_b32_e64 v2, 0, 1, s2
	s_delay_alu instid0(VALU_DEP_1)
	v_cmp_ne_u32_e32 vcc_lo, 0, v2
	s_cbranch_vccnz .LBB0_6
.LBB0_624:                              ;   in Loop: Header=BB0_3 Depth=1
	s_or_b32 exec_lo, exec_lo, s29
.LBB0_625:                              ;   in Loop: Header=BB0_3 Depth=1
	s_delay_alu instid0(SALU_CYCLE_1) | instskip(NEXT) | instid1(VALU_DEP_1)
	s_or_b32 exec_lo, exec_lo, s28
	v_cmp_ne_u32_e32 vcc_lo, 0, v85
	s_cbranch_vccnz .LBB0_3
; %bb.626:
                                        ; implicit-def: $vgpr82
                                        ; implicit-def: $vgpr2_vgpr3
.LBB0_627:
	s_and_not1_saveexec_b32 s6, s27
	s_cbranch_execz .LBB0_660
; %bb.628:
	s_load_b64 s[2:3], s[8:9], 0x50
	v_readfirstlane_b32 s0, v82
	v_mov_b64_e32 v[0:1], 0
	s_delay_alu instid0(VALU_DEP_2)
	v_cmp_eq_u32_e64 s0, s0, v82
	s_and_saveexec_b32 s1, s0
	s_cbranch_execz .LBB0_634
; %bb.629:
	v_mov_b32_e32 v4, 0
	s_mov_b32 s4, exec_lo
	s_wait_kmcnt 0x0
	global_load_b64 v[8:9], v4, s[2:3] offset:24 scope:SCOPE_SYS
	s_wait_loadcnt 0x0
	global_inv scope:SCOPE_SYS
	s_clause 0x1
	global_load_b64 v[0:1], v4, s[2:3] offset:40
	global_load_b64 v[6:7], v4, s[2:3]
	s_wait_loadcnt 0x1
	v_and_b32_e32 v0, v0, v8
	v_and_b32_e32 v1, v1, v9
	s_delay_alu instid0(VALU_DEP_1) | instskip(SKIP_1) | instid1(VALU_DEP_1)
	v_mul_u64_e32 v[0:1], 24, v[0:1]
	s_wait_loadcnt 0x0
	v_add_nc_u64_e32 v[0:1], v[6:7], v[0:1]
	global_load_b64 v[6:7], v[0:1], off scope:SCOPE_SYS
	s_wait_xcnt 0x0
	s_wait_loadcnt 0x0
	global_atomic_cmpswap_b64 v[0:1], v4, v[6:9], s[2:3] offset:24 th:TH_ATOMIC_RETURN scope:SCOPE_SYS
	s_wait_loadcnt 0x0
	global_inv scope:SCOPE_SYS
	s_wait_xcnt 0x0
	v_cmpx_ne_u64_e64 v[0:1], v[8:9]
	s_cbranch_execz .LBB0_633
; %bb.630:
	s_mov_b32 s5, 0
.LBB0_631:                              ; =>This Inner Loop Header: Depth=1
	s_sleep 1
	s_clause 0x1
	global_load_b64 v[6:7], v4, s[2:3] offset:40
	global_load_b64 v[10:11], v4, s[2:3]
	v_mov_b64_e32 v[8:9], v[0:1]
	s_wait_loadcnt 0x1
	s_delay_alu instid0(VALU_DEP_1) | instskip(NEXT) | instid1(VALU_DEP_2)
	v_and_b32_e32 v0, v6, v8
	v_and_b32_e32 v5, v7, v9
	s_wait_loadcnt 0x0
	s_delay_alu instid0(VALU_DEP_2) | instskip(NEXT) | instid1(VALU_DEP_1)
	v_mad_nc_u64_u32 v[0:1], v0, 24, v[10:11]
	v_mad_u32 v1, v5, 24, v1
	global_load_b64 v[6:7], v[0:1], off scope:SCOPE_SYS
	s_wait_xcnt 0x0
	s_wait_loadcnt 0x0
	global_atomic_cmpswap_b64 v[0:1], v4, v[6:9], s[2:3] offset:24 th:TH_ATOMIC_RETURN scope:SCOPE_SYS
	s_wait_loadcnt 0x0
	global_inv scope:SCOPE_SYS
	v_cmp_eq_u64_e32 vcc_lo, v[0:1], v[8:9]
	s_or_b32 s5, vcc_lo, s5
	s_wait_xcnt 0x0
	s_and_not1_b32 exec_lo, exec_lo, s5
	s_cbranch_execnz .LBB0_631
; %bb.632:
	s_or_b32 exec_lo, exec_lo, s5
.LBB0_633:
	s_delay_alu instid0(SALU_CYCLE_1)
	s_or_b32 exec_lo, exec_lo, s4
.LBB0_634:
	s_delay_alu instid0(SALU_CYCLE_1)
	s_or_b32 exec_lo, exec_lo, s1
	v_readfirstlane_b32 s4, v0
	v_mov_b32_e32 v5, 0
	v_readfirstlane_b32 s5, v1
	s_mov_b32 s1, exec_lo
	s_wait_kmcnt 0x0
	s_clause 0x1
	global_load_b64 v[6:7], v5, s[2:3] offset:40
	global_load_b128 v[8:11], v5, s[2:3]
	s_wait_loadcnt 0x1
	v_and_b32_e32 v0, s4, v6
	v_and_b32_e32 v1, s5, v7
	s_delay_alu instid0(VALU_DEP_1) | instskip(SKIP_1) | instid1(VALU_DEP_1)
	v_mul_u64_e32 v[6:7], 24, v[0:1]
	s_wait_loadcnt 0x0
	v_add_nc_u64_e32 v[12:13], v[8:9], v[6:7]
	s_wait_xcnt 0x0
	s_and_saveexec_b32 s7, s0
	s_cbranch_execz .LBB0_636
; %bb.635:
	v_mov_b64_e32 v[6:7], 0x100000003
	v_mov_b32_e32 v4, s1
	global_store_b128 v[12:13], v[4:7], off offset:8
.LBB0_636:
	s_wait_xcnt 0x0
	s_or_b32 exec_lo, exec_lo, s7
	v_lshlrev_b64_e32 v[0:1], 12, v[0:1]
	s_mov_b32 s12, 0
	v_lshlrev_b32_e32 v4, 6, v82
	s_mov_b32 s14, s12
	s_mov_b32 s15, s12
	;; [unrolled: 1-line block ×3, first 2 shown]
	v_mov_b64_e32 v[16:17], s[14:15]
	v_add_nc_u64_e32 v[6:7], v[10:11], v[0:1]
	v_mov_b64_e32 v[14:15], s[12:13]
	v_dual_mov_b32 v0, v5 :: v_dual_mov_b32 v1, v5
	s_delay_alu instid0(VALU_DEP_3) | instskip(NEXT) | instid1(VALU_DEP_4)
	v_readfirstlane_b32 s10, v6
	v_readfirstlane_b32 s11, v7
	s_clause 0x3
	global_store_b128 v4, v[0:3], s[10:11]
	global_store_b128 v4, v[14:17], s[10:11] offset:16
	global_store_b128 v4, v[14:17], s[10:11] offset:32
	;; [unrolled: 1-line block ×3, first 2 shown]
	s_wait_xcnt 0x0
	s_and_saveexec_b32 s1, s0
	s_cbranch_execz .LBB0_644
; %bb.637:
	v_dual_mov_b32 v10, 0 :: v_dual_mov_b32 v15, s5
	s_mov_b32 s7, exec_lo
	s_clause 0x1
	global_load_b64 v[16:17], v10, s[2:3] offset:32 scope:SCOPE_SYS
	global_load_b64 v[0:1], v10, s[2:3] offset:40
	s_wait_loadcnt 0x0
	v_dual_mov_b32 v14, s4 :: v_dual_bitop2_b32 v1, s5, v1 bitop3:0x40
	v_and_b32_e32 v0, s4, v0
	s_delay_alu instid0(VALU_DEP_1) | instskip(NEXT) | instid1(VALU_DEP_1)
	v_mul_u64_e32 v[0:1], 24, v[0:1]
	v_add_nc_u64_e32 v[8:9], v[8:9], v[0:1]
	global_store_b64 v[8:9], v[16:17], off
	global_wb scope:SCOPE_SYS
	s_wait_storecnt 0x0
	s_wait_xcnt 0x0
	global_atomic_cmpswap_b64 v[2:3], v10, v[14:17], s[2:3] offset:32 th:TH_ATOMIC_RETURN scope:SCOPE_SYS
	s_wait_loadcnt 0x0
	v_cmpx_ne_u64_e64 v[2:3], v[16:17]
	s_cbranch_execz .LBB0_640
; %bb.638:
	s_mov_b32 s10, 0
.LBB0_639:                              ; =>This Inner Loop Header: Depth=1
	v_dual_mov_b32 v0, s4 :: v_dual_mov_b32 v1, s5
	s_sleep 1
	global_store_b64 v[8:9], v[2:3], off
	global_wb scope:SCOPE_SYS
	s_wait_storecnt 0x0
	s_wait_xcnt 0x0
	global_atomic_cmpswap_b64 v[0:1], v10, v[0:3], s[2:3] offset:32 th:TH_ATOMIC_RETURN scope:SCOPE_SYS
	s_wait_loadcnt 0x0
	v_cmp_eq_u64_e32 vcc_lo, v[0:1], v[2:3]
	v_mov_b64_e32 v[2:3], v[0:1]
	s_or_b32 s10, vcc_lo, s10
	s_delay_alu instid0(SALU_CYCLE_1)
	s_and_not1_b32 exec_lo, exec_lo, s10
	s_cbranch_execnz .LBB0_639
.LBB0_640:
	s_or_b32 exec_lo, exec_lo, s7
	v_mov_b32_e32 v3, 0
	s_mov_b32 s10, exec_lo
	s_mov_b32 s7, exec_lo
	v_mbcnt_lo_u32_b32 v2, s10, 0
	global_load_b64 v[0:1], v3, s[2:3] offset:16
	s_wait_xcnt 0x0
	v_cmpx_eq_u32_e32 0, v2
	s_cbranch_execz .LBB0_642
; %bb.641:
	s_bcnt1_i32_b32 s10, s10
	s_delay_alu instid0(SALU_CYCLE_1)
	v_mov_b32_e32 v2, s10
	global_wb scope:SCOPE_SYS
	s_wait_loadcnt 0x0
	s_wait_storecnt 0x0
	global_atomic_add_u64 v[0:1], v[2:3], off offset:8 scope:SCOPE_SYS
.LBB0_642:
	s_wait_xcnt 0x0
	s_or_b32 exec_lo, exec_lo, s7
	s_wait_loadcnt 0x0
	global_load_b64 v[2:3], v[0:1], off offset:16
	s_wait_loadcnt 0x0
	v_cmp_eq_u64_e32 vcc_lo, 0, v[2:3]
	s_cbranch_vccnz .LBB0_644
; %bb.643:
	global_load_b32 v0, v[0:1], off offset:24
	s_wait_xcnt 0x0
	v_mov_b32_e32 v1, 0
	s_wait_loadcnt 0x0
	v_readfirstlane_b32 s7, v0
	global_wb scope:SCOPE_SYS
	s_wait_storecnt 0x0
	global_store_b64 v[2:3], v[0:1], off scope:SCOPE_SYS
	s_and_b32 m0, s7, 0xffffff
	s_sendmsg sendmsg(MSG_INTERRUPT)
.LBB0_644:
	s_wait_xcnt 0x0
	s_or_b32 exec_lo, exec_lo, s1
	v_add_nc_u64_e32 v[0:1], v[6:7], v[4:5]
.LBB0_645:                              ; =>This Inner Loop Header: Depth=1
	v_mov_b32_e32 v2, 1
	s_and_saveexec_b32 s1, s0
	s_cbranch_execz .LBB0_647
; %bb.646:                              ;   in Loop: Header=BB0_645 Depth=1
	global_load_b32 v2, v[12:13], off offset:20 scope:SCOPE_SYS
	s_wait_loadcnt 0x0
	global_inv scope:SCOPE_SYS
	v_and_b32_e32 v2, 1, v2
.LBB0_647:                              ;   in Loop: Header=BB0_645 Depth=1
	s_wait_xcnt 0x0
	s_or_b32 exec_lo, exec_lo, s1
	s_delay_alu instid0(VALU_DEP_1)
	v_readfirstlane_b32 s1, v2
	s_cmp_eq_u32 s1, 0
	s_cbranch_scc1 .LBB0_649
; %bb.648:                              ;   in Loop: Header=BB0_645 Depth=1
	s_mov_b32 s1, 0
	s_sleep 1
	s_branch .LBB0_650
.LBB0_649:                              ;   in Loop: Header=BB0_645 Depth=1
	s_mov_b32 s1, -1
.LBB0_650:                              ;   in Loop: Header=BB0_645 Depth=1
	s_delay_alu instid0(SALU_CYCLE_1)
	s_and_not1_b32 vcc_lo, exec_lo, s1
	s_cbranch_vccnz .LBB0_645
; %bb.651:
	global_load_b64 v[0:1], v[0:1], off
	s_wait_xcnt 0x0
	s_and_saveexec_b32 s7, s0
	s_cbranch_execz .LBB0_655
; %bb.652:
	v_mov_b32_e32 v8, 0
	s_clause 0x2
	global_load_b64 v[2:3], v8, s[2:3] offset:40
	global_load_b64 v[12:13], v8, s[2:3] offset:24 scope:SCOPE_SYS
	global_load_b64 v[4:5], v8, s[2:3]
	s_wait_loadcnt 0x2
	v_readfirstlane_b32 s10, v2
	v_readfirstlane_b32 s11, v3
	s_add_nc_u64 s[0:1], s[10:11], 1
	s_delay_alu instid0(SALU_CYCLE_1) | instskip(NEXT) | instid1(SALU_CYCLE_1)
	s_add_nc_u64 s[4:5], s[0:1], s[4:5]
	s_cmp_eq_u64 s[4:5], 0
	s_cselect_b32 s1, s1, s5
	s_cselect_b32 s0, s0, s4
	v_mov_b32_e32 v11, s1
	s_and_b64 s[4:5], s[0:1], s[10:11]
	v_mov_b32_e32 v10, s0
	s_mul_u64 s[4:5], s[4:5], 24
	s_wait_loadcnt 0x0
	v_add_nc_u64_e32 v[6:7], s[4:5], v[4:5]
	global_store_b64 v[6:7], v[12:13], off
	global_wb scope:SCOPE_SYS
	s_wait_storecnt 0x0
	s_wait_xcnt 0x0
	global_atomic_cmpswap_b64 v[4:5], v8, v[10:13], s[2:3] offset:24 th:TH_ATOMIC_RETURN scope:SCOPE_SYS
	s_wait_loadcnt 0x0
	v_cmp_ne_u64_e32 vcc_lo, v[4:5], v[12:13]
	s_and_b32 exec_lo, exec_lo, vcc_lo
	s_cbranch_execz .LBB0_655
; %bb.653:
	s_mov_b32 s4, 0
.LBB0_654:                              ; =>This Inner Loop Header: Depth=1
	v_dual_mov_b32 v2, s0 :: v_dual_mov_b32 v3, s1
	s_sleep 1
	global_store_b64 v[6:7], v[4:5], off
	global_wb scope:SCOPE_SYS
	s_wait_storecnt 0x0
	s_wait_xcnt 0x0
	global_atomic_cmpswap_b64 v[2:3], v8, v[2:5], s[2:3] offset:24 th:TH_ATOMIC_RETURN scope:SCOPE_SYS
	s_wait_loadcnt 0x0
	v_cmp_eq_u64_e32 vcc_lo, v[2:3], v[4:5]
	v_mov_b64_e32 v[4:5], v[2:3]
	s_or_b32 s4, vcc_lo, s4
	s_delay_alu instid0(SALU_CYCLE_1)
	s_and_not1_b32 exec_lo, exec_lo, s4
	s_cbranch_execnz .LBB0_654
.LBB0_655:
	s_or_b32 exec_lo, exec_lo, s7
	s_delay_alu instid0(SALU_CYCLE_1)
	s_mov_b32 s0, exec_lo
	s_wait_loadcnt 0x0
	v_cmpx_ne_u64_e32 0, v[0:1]
	s_cbranch_execz .LBB0_659
; %bb.656:
	s_mov_b32 s1, exec_lo
	s_delay_alu instid0(SALU_CYCLE_1) | instskip(NEXT) | instid1(VALU_DEP_1)
	v_mbcnt_lo_u32_b32 v2, s1, 0
	v_cmp_eq_u32_e32 vcc_lo, 0, v2
	s_and_b32 s2, exec_lo, vcc_lo
	s_delay_alu instid0(SALU_CYCLE_1)
	s_mov_b32 exec_lo, s2
	s_cbranch_execz .LBB0_659
; %bb.657:
	s_mov_b32 s2, exec_lo
	s_delay_alu instid0(SALU_CYCLE_1) | instskip(NEXT) | instid1(VALU_DEP_1)
	v_mbcnt_lo_u32_b32 v2, s2, 0
	v_cmp_eq_u32_e32 vcc_lo, 0, v2
	s_and_b32 s3, exec_lo, vcc_lo
	s_delay_alu instid0(SALU_CYCLE_1)
	s_mov_b32 exec_lo, s3
	s_cbranch_execz .LBB0_659
; %bb.658:
	s_load_b64 s[4:5], s[8:9], 0x60
	s_bcnt1_i32_b32 s1, s1
	s_bcnt1_i32_b32 s2, s2
	s_delay_alu instid0(SALU_CYCLE_1) | instskip(NEXT) | instid1(SALU_CYCLE_1)
	s_mul_i32 s1, s1, s2
	v_dual_mov_b32 v3, 0 :: v_dual_mov_b32 v2, s1
	s_wait_xcnt 0x0
	s_wait_kmcnt 0x0
	global_atomic_add_u64 v3, v[2:3], s[4:5] offset:108680 scope:SCOPE_DEV
.LBB0_659:
	s_wait_xcnt 0x0
	s_or_b32 exec_lo, exec_lo, s0
.LBB0_660:
	s_delay_alu instid0(SALU_CYCLE_1)
	s_or_b32 exec_lo, exec_lo, s6
.LBB0_661:
	s_delay_alu instid0(SALU_CYCLE_1)
	s_or_b32 exec_lo, exec_lo, s26
	s_wait_loadcnt 0x0
	s_wait_kmcnt 0x0
	s_set_pc_i64 s[30:31]
.Lfunc_end0:
	.size	__ockl_dm_alloc, .Lfunc_end0-__ockl_dm_alloc
                                        ; -- End function
	.set .L__ockl_dm_alloc.num_vgpr, 100
	.set .L__ockl_dm_alloc.num_agpr, 0
	.set .L__ockl_dm_alloc.numbered_sgpr, 62
	.set .L__ockl_dm_alloc.num_named_barrier, 0
	.set .L__ockl_dm_alloc.private_seg_size, 0
	.set .L__ockl_dm_alloc.uses_vcc, 1
	.set .L__ockl_dm_alloc.uses_flat_scratch, 0
	.set .L__ockl_dm_alloc.has_dyn_sized_stack, 0
	.set .L__ockl_dm_alloc.has_recursion, 0
	.set .L__ockl_dm_alloc.has_indirect_call, 0
	.section	.AMDGPU.csdata,"",@progbits
; Function info:
; codeLenInByte = 22844
; TotalNumSgprs: 64
; NumVgprs: 100
; ScratchSize: 0
; MemoryBound: 1
	.section	.text.unlikely.,"ax",@progbits
	.p2align	2                               ; -- Begin function __ockl_dm_dealloc
	.type	__ockl_dm_dealloc,@function
__ockl_dm_dealloc:                      ; @__ockl_dm_dealloc
; %bb.0:
	s_wait_loadcnt_dscnt 0x0
	s_wait_kmcnt 0x0
	v_and_b32_e32 v2, 0xfff, v0
	v_mov_b32_e32 v3, 0
	s_mov_b32 s0, exec_lo
	s_delay_alu instid0(VALU_DEP_1)
	v_cmpx_ne_u64_e32 0, v[2:3]
	s_xor_b32 s4, exec_lo, s0
	s_cbranch_execz .LBB1_14
; %bb.1:
	v_and_b32_e32 v4, 0xffe00000, v0
	v_mov_b32_e32 v5, v1
	s_load_b64 s[0:1], s[8:9], 0x60
	v_and_b32_e32 v17, 0x1fffff, v0
                                        ; implicit-def: $sgpr5
	v_mov_b32_e32 v15, v3
	global_load_b64 v[6:7], v[4:5], off
	s_wait_loadcnt 0x0
	v_lshrrev_b32_e32 v1, 1, v6
	v_bfe_i32 v2, v6, 0, 1
	s_wait_kmcnt 0x0
	v_mad_nc_u64_u32 v[12:13], 0x1800, v6, s[0:1]
	s_get_pc_i64 s[0:1]
	s_add_nc_u64 s[0:1], s[0:1], kinfo@rel64+4
	v_and_b32_e32 v18, 0xff, v7
	v_add_nc_u32_e32 v1, 4, v1
	s_delay_alu instid0(VALU_DEP_1) | instskip(NEXT) | instid1(VALU_DEP_1)
	v_lshlrev_b32_e64 v1, v1, 1
	v_lshrrev_b32_e32 v8, 1, v1
	s_delay_alu instid0(VALU_DEP_1) | instskip(SKIP_1) | instid1(VALU_DEP_2)
	v_and_b32_e32 v2, v2, v8
	v_add_nc_u32_e32 v8, 0xffffff00, v7
	v_add_nc_u32_e32 v16, v2, v1
	s_delay_alu instid0(VALU_DEP_1) | instskip(SKIP_1) | instid1(VALU_DEP_2)
	v_cvt_f32_u32_e32 v1, v16
	v_sub_nc_u32_e32 v2, 0, v16
	v_rcp_iflag_f32_e32 v1, v1
	v_nop
	s_delay_alu instid0(TRANS32_DEP_1) | instskip(NEXT) | instid1(VALU_DEP_1)
	v_mul_f32_e32 v1, 0x4f7ffffe, v1
	v_cvt_u32_f32_e32 v1, v1
	s_delay_alu instid0(VALU_DEP_1) | instskip(NEXT) | instid1(VALU_DEP_1)
	v_mul_lo_u32 v2, v2, v1
	v_mul_hi_u32 v14, v1, v2
	v_lshrrev_b32_e32 v2, 8, v8
	v_mad_nc_u64_u32 v[8:9], v6, 28, s[0:1]
	v_cmp_lt_u32_e64 s0, 0xff, v7
	s_delay_alu instid0(VALU_DEP_4) | instskip(NEXT) | instid1(VALU_DEP_4)
	v_add_nc_u32_e32 v14, v1, v14
	v_mad_nc_u64_u32 v[10:11], v2, 24, v[12:13]
	v_add_nc_u64_e32 v[12:13], 0x2800, v[12:13]
	v_mov_b32_e32 v2, 1
.LBB1_2:                                ; =>This Inner Loop Header: Depth=1
	v_mov_b32_e32 v0, 0
	s_and_not1_b32 s5, s5, exec_lo
	s_mov_b32 s6, exec_lo
	s_wait_xcnt 0x0
	v_cmpx_ne_u32_e32 0, v2
	s_cbranch_execz .LBB1_13
; %bb.3:                                ;   in Loop: Header=BB1_2 Depth=1
	v_readfirstlane_b32 s1, v6
	v_readfirstlane_b32 s2, v7
	v_mov_b32_e32 v0, 1
	s_delay_alu instid0(VALU_DEP_3) | instskip(NEXT) | instid1(VALU_DEP_3)
	v_cmp_eq_u32_e32 vcc_lo, s1, v6
	v_cmp_eq_u32_e64 s1, s2, v7
	s_and_b32 s2, vcc_lo, s1
	s_mov_b32 s1, -1
	s_and_saveexec_b32 s7, s2
	s_cbranch_execz .LBB1_12
; %bb.4:                                ;   in Loop: Header=BB1_2 Depth=1
	s_mov_b32 s10, exec_lo
	v_mov_b32_e32 v1, 0
	v_mbcnt_lo_u32_b32 v0, s10, 0
	s_delay_alu instid0(VALU_DEP_1)
	v_cmp_eq_u32_e32 vcc_lo, 0, v0
	v_mov_b32_e32 v0, 0
	s_and_saveexec_b32 s1, vcc_lo
	s_cbranch_execz .LBB1_8
; %bb.5:                                ;   in Loop: Header=BB1_2 Depth=1
	v_mov_b64_e32 v[0:1], v[12:13]
	v_mov_b32_e32 v2, v7
	s_and_saveexec_b32 s2, s0
	s_cbranch_execz .LBB1_7
; %bb.6:                                ;   in Loop: Header=BB1_2 Depth=1
	global_load_b64 v[0:1], v[10:11], off offset:10240 scope:SCOPE_DEV
	v_mov_b32_e32 v2, v18
.LBB1_7:                                ;   in Loop: Header=BB1_2 Depth=1
	s_wait_xcnt 0x0
	s_or_b32 exec_lo, exec_lo, s2
	s_wait_loadcnt 0x0
	s_delay_alu instid0(VALU_DEP_1)
	v_mad_nc_u64_u32 v[0:1], v2, 24, v[0:1]
.LBB1_8:                                ;   in Loop: Header=BB1_2 Depth=1
	s_or_b32 exec_lo, exec_lo, s1
	global_load_b32 v2, v[8:9], off offset:12
	v_readfirstlane_b32 s2, v0
	v_readfirstlane_b32 s3, v1
	s_wait_loadcnt 0x0
	v_sub_nc_u32_e32 v2, v17, v2
	s_delay_alu instid0(VALU_DEP_1) | instskip(NEXT) | instid1(VALU_DEP_1)
	v_mul_u64_e32 v[20:21], v[2:3], v[14:15]
	v_mul_lo_u32 v19, v21, v16
	s_delay_alu instid0(VALU_DEP_1) | instskip(NEXT) | instid1(VALU_DEP_1)
	v_dual_sub_nc_u32 v2, v2, v19 :: v_dual_add_nc_u32 v19, 1, v21
	v_cmp_ge_u32_e64 s1, v2, v16
	s_delay_alu instid0(VALU_DEP_1) | instskip(NEXT) | instid1(VALU_DEP_1)
	v_dual_cndmask_b32 v19, v21, v19, s1 :: v_dual_sub_nc_u32 v20, v2, v16
	v_dual_cndmask_b32 v2, v2, v20, s1 :: v_dual_add_nc_u32 v20, 1, v19
	s_delay_alu instid0(VALU_DEP_1) | instskip(NEXT) | instid1(VALU_DEP_1)
	v_cmp_ge_u32_e64 s1, v2, v16
	v_cndmask_b32_e64 v19, v19, v20, s1
	s_delay_alu instid0(VALU_DEP_1) | instskip(SKIP_1) | instid1(VALU_DEP_2)
	v_lshrrev_b32_e32 v2, 3, v19
	v_lshlrev_b32_e64 v19, v19, 1
	v_and_b32_e32 v2, 0x1ffffffc, v2
	s_delay_alu instid0(VALU_DEP_1) | instskip(NEXT) | instid1(VALU_DEP_3)
	v_add_nc_u64_e32 v[20:21], v[4:5], v[2:3]
	v_not_b32_e32 v2, v19
	s_wait_xcnt 0x0
	global_atomic_and_b32 v[20:21], v2, off offset:16 scope:SCOPE_DEV
	s_wait_xcnt 0x0
	s_and_saveexec_b32 s1, vcc_lo
	s_cbranch_execz .LBB1_11
; %bb.9:                                ;   in Loop: Header=BB1_2 Depth=1
	s_mov_b32 s11, exec_lo
	s_delay_alu instid0(SALU_CYCLE_1) | instskip(NEXT) | instid1(VALU_DEP_1)
	v_mbcnt_lo_u32_b32 v0, s11, 0
	v_cmp_eq_u32_e32 vcc_lo, 0, v0
	s_and_b32 s12, exec_lo, vcc_lo
	s_delay_alu instid0(SALU_CYCLE_1)
	s_mov_b32 exec_lo, s12
	s_cbranch_execz .LBB1_11
; %bb.10:                               ;   in Loop: Header=BB1_2 Depth=1
	s_bcnt1_i32_b32 s10, s10
	s_bcnt1_i32_b32 s11, s11
	s_delay_alu instid0(SALU_CYCLE_1) | instskip(NEXT) | instid1(SALU_CYCLE_1)
	s_mul_i32 s10, s10, s11
	v_mov_b32_e32 v0, s10
	global_atomic_sub_u32 v3, v0, s[2:3] offset:16 scope:SCOPE_DEV
.LBB1_11:                               ;   in Loop: Header=BB1_2 Depth=1
	s_wait_xcnt 0x0
	s_or_b32 exec_lo, exec_lo, s1
	v_mov_b32_e32 v0, 0
	s_xor_b32 s1, exec_lo, -1
.LBB1_12:                               ;   in Loop: Header=BB1_2 Depth=1
	s_or_b32 exec_lo, exec_lo, s7
	s_delay_alu instid0(SALU_CYCLE_1) | instskip(SKIP_1) | instid1(SALU_CYCLE_1)
	s_and_not1_b32 s2, s5, exec_lo
	s_and_b32 s1, s1, exec_lo
	s_or_b32 s5, s2, s1
.LBB1_13:                               ;   in Loop: Header=BB1_2 Depth=1
	s_or_b32 exec_lo, exec_lo, s6
	v_cndmask_b32_e64 v1, 0, 1, s5
	v_mov_b32_e32 v2, v0
	s_delay_alu instid0(VALU_DEP_2)
	v_cmp_ne_u32_e32 vcc_lo, 0, v1
                                        ; implicit-def: $vgpr0_vgpr1
	s_cbranch_vccnz .LBB1_2
.LBB1_14:
	s_and_not1_saveexec_b32 s6, s4
	s_cbranch_execz .LBB1_47
; %bb.15:
	s_mov_b32 s7, exec_lo
	v_cmpx_ne_u64_e32 0, v[0:1]
	s_cbranch_execz .LBB1_46
; %bb.16:
	s_load_b64 s[2:3], s[8:9], 0x50
	v_mbcnt_lo_u32_b32 v3, -1, 0
	v_mov_b64_e32 v[8:9], 0
	s_delay_alu instid0(VALU_DEP_2) | instskip(NEXT) | instid1(VALU_DEP_1)
	v_readfirstlane_b32 s0, v3
	v_cmp_eq_u32_e64 s0, s0, v3
	s_and_saveexec_b32 s1, s0
	s_cbranch_execz .LBB1_22
; %bb.17:
	v_mov_b32_e32 v2, 0
	s_mov_b32 s4, exec_lo
	s_wait_kmcnt 0x0
	global_load_b64 v[6:7], v2, s[2:3] offset:24 scope:SCOPE_SYS
	s_wait_loadcnt 0x0
	global_inv scope:SCOPE_SYS
	s_clause 0x1
	global_load_b64 v[4:5], v2, s[2:3] offset:40
	global_load_b64 v[8:9], v2, s[2:3]
	s_wait_loadcnt 0x1
	v_and_b32_e32 v4, v4, v6
	v_and_b32_e32 v5, v5, v7
	s_delay_alu instid0(VALU_DEP_1) | instskip(SKIP_1) | instid1(VALU_DEP_1)
	v_mul_u64_e32 v[4:5], 24, v[4:5]
	s_wait_loadcnt 0x0
	v_add_nc_u64_e32 v[4:5], v[8:9], v[4:5]
	global_load_b64 v[4:5], v[4:5], off scope:SCOPE_SYS
	s_wait_xcnt 0x0
	s_wait_loadcnt 0x0
	global_atomic_cmpswap_b64 v[8:9], v2, v[4:7], s[2:3] offset:24 th:TH_ATOMIC_RETURN scope:SCOPE_SYS
	s_wait_loadcnt 0x0
	global_inv scope:SCOPE_SYS
	s_wait_xcnt 0x0
	v_cmpx_ne_u64_e64 v[8:9], v[6:7]
	s_cbranch_execz .LBB1_21
; %bb.18:
	s_mov_b32 s5, 0
.LBB1_19:                               ; =>This Inner Loop Header: Depth=1
	s_sleep 1
	s_clause 0x1
	global_load_b64 v[4:5], v2, s[2:3] offset:40
	global_load_b64 v[10:11], v2, s[2:3]
	v_mov_b64_e32 v[6:7], v[8:9]
	s_wait_loadcnt 0x1
	s_delay_alu instid0(VALU_DEP_1) | instskip(SKIP_1) | instid1(VALU_DEP_1)
	v_and_b32_e32 v4, v4, v6
	s_wait_loadcnt 0x0
	v_mad_nc_u64_u32 v[8:9], v4, 24, v[10:11]
	s_delay_alu instid0(VALU_DEP_3) | instskip(NEXT) | instid1(VALU_DEP_1)
	v_and_b32_e32 v4, v5, v7
	v_mad_u32 v9, v4, 24, v9
	global_load_b64 v[4:5], v[8:9], off scope:SCOPE_SYS
	s_wait_xcnt 0x0
	s_wait_loadcnt 0x0
	global_atomic_cmpswap_b64 v[8:9], v2, v[4:7], s[2:3] offset:24 th:TH_ATOMIC_RETURN scope:SCOPE_SYS
	s_wait_loadcnt 0x0
	global_inv scope:SCOPE_SYS
	v_cmp_eq_u64_e32 vcc_lo, v[8:9], v[6:7]
	s_or_b32 s5, vcc_lo, s5
	s_wait_xcnt 0x0
	s_and_not1_b32 exec_lo, exec_lo, s5
	s_cbranch_execnz .LBB1_19
; %bb.20:
	s_or_b32 exec_lo, exec_lo, s5
.LBB1_21:
	s_delay_alu instid0(SALU_CYCLE_1)
	s_or_b32 exec_lo, exec_lo, s4
.LBB1_22:
	s_delay_alu instid0(SALU_CYCLE_1)
	s_or_b32 exec_lo, exec_lo, s1
	v_readfirstlane_b32 s4, v8
	v_mov_b32_e32 v2, 0
	v_readfirstlane_b32 s5, v9
	s_mov_b32 s1, exec_lo
	s_wait_kmcnt 0x0
	s_clause 0x1
	global_load_b64 v[10:11], v2, s[2:3] offset:40
	global_load_b128 v[4:7], v2, s[2:3]
	s_wait_loadcnt 0x1
	v_and_b32_e32 v10, s4, v10
	v_and_b32_e32 v11, s5, v11
	s_delay_alu instid0(VALU_DEP_1) | instskip(SKIP_1) | instid1(VALU_DEP_1)
	v_mul_u64_e32 v[8:9], 24, v[10:11]
	s_wait_loadcnt 0x0
	v_add_nc_u64_e32 v[8:9], v[4:5], v[8:9]
	s_wait_xcnt 0x0
	s_and_saveexec_b32 s10, s0
	s_cbranch_execz .LBB1_24
; %bb.23:
	v_mov_b64_e32 v[14:15], 0x100000003
	v_dual_mov_b32 v12, s1 :: v_dual_mov_b32 v13, v2
	global_store_b128 v[8:9], v[12:15], off offset:8
.LBB1_24:
	s_wait_xcnt 0x0
	s_or_b32 exec_lo, exec_lo, s10
	v_lshlrev_b64_e32 v[10:11], 12, v[10:11]
	s_mov_b32 s12, 0
	v_dual_mov_b32 v3, v2 :: v_dual_lshlrev_b32 v14, 6, v3
	s_mov_b32 s13, s12
	s_mov_b32 s14, s12
	;; [unrolled: 1-line block ×3, first 2 shown]
	s_delay_alu instid0(VALU_DEP_2) | instskip(SKIP_2) | instid1(VALU_DEP_3)
	v_add_nc_u64_e32 v[6:7], v[6:7], v[10:11]
	v_mov_b64_e32 v[10:11], s[12:13]
	v_mov_b64_e32 v[12:13], s[14:15]
	v_readfirstlane_b32 s10, v6
	s_delay_alu instid0(VALU_DEP_4)
	v_readfirstlane_b32 s11, v7
	s_clause 0x3
	global_store_b128 v14, v[0:3], s[10:11]
	global_store_b128 v14, v[10:13], s[10:11] offset:16
	global_store_b128 v14, v[10:13], s[10:11] offset:32
	global_store_b128 v14, v[10:13], s[10:11] offset:48
	s_wait_xcnt 0x0
	s_and_saveexec_b32 s1, s0
	s_cbranch_execz .LBB1_32
; %bb.25:
	v_dual_mov_b32 v6, 0 :: v_dual_mov_b32 v11, s5
	s_mov_b32 s10, exec_lo
	s_clause 0x1
	global_load_b64 v[12:13], v6, s[2:3] offset:32 scope:SCOPE_SYS
	global_load_b64 v[0:1], v6, s[2:3] offset:40
	s_wait_loadcnt 0x0
	v_dual_mov_b32 v10, s4 :: v_dual_bitop2_b32 v1, s5, v1 bitop3:0x40
	v_and_b32_e32 v0, s4, v0
	s_delay_alu instid0(VALU_DEP_1) | instskip(NEXT) | instid1(VALU_DEP_1)
	v_mul_u64_e32 v[0:1], 24, v[0:1]
	v_add_nc_u64_e32 v[4:5], v[4:5], v[0:1]
	global_store_b64 v[4:5], v[12:13], off
	global_wb scope:SCOPE_SYS
	s_wait_storecnt 0x0
	s_wait_xcnt 0x0
	global_atomic_cmpswap_b64 v[2:3], v6, v[10:13], s[2:3] offset:32 th:TH_ATOMIC_RETURN scope:SCOPE_SYS
	s_wait_loadcnt 0x0
	v_cmpx_ne_u64_e64 v[2:3], v[12:13]
	s_cbranch_execz .LBB1_28
; %bb.26:
	s_mov_b32 s11, 0
.LBB1_27:                               ; =>This Inner Loop Header: Depth=1
	v_dual_mov_b32 v0, s4 :: v_dual_mov_b32 v1, s5
	s_sleep 1
	global_store_b64 v[4:5], v[2:3], off
	global_wb scope:SCOPE_SYS
	s_wait_storecnt 0x0
	s_wait_xcnt 0x0
	global_atomic_cmpswap_b64 v[0:1], v6, v[0:3], s[2:3] offset:32 th:TH_ATOMIC_RETURN scope:SCOPE_SYS
	s_wait_loadcnt 0x0
	v_cmp_eq_u64_e32 vcc_lo, v[0:1], v[2:3]
	v_mov_b64_e32 v[2:3], v[0:1]
	s_or_b32 s11, vcc_lo, s11
	s_delay_alu instid0(SALU_CYCLE_1)
	s_and_not1_b32 exec_lo, exec_lo, s11
	s_cbranch_execnz .LBB1_27
.LBB1_28:
	s_or_b32 exec_lo, exec_lo, s10
	v_mov_b32_e32 v3, 0
	s_mov_b32 s11, exec_lo
	s_mov_b32 s10, exec_lo
	v_mbcnt_lo_u32_b32 v2, s11, 0
	global_load_b64 v[0:1], v3, s[2:3] offset:16
	s_wait_xcnt 0x0
	v_cmpx_eq_u32_e32 0, v2
	s_cbranch_execz .LBB1_30
; %bb.29:
	s_bcnt1_i32_b32 s11, s11
	s_delay_alu instid0(SALU_CYCLE_1)
	v_mov_b32_e32 v2, s11
	global_wb scope:SCOPE_SYS
	s_wait_loadcnt 0x0
	s_wait_storecnt 0x0
	global_atomic_add_u64 v[0:1], v[2:3], off offset:8 scope:SCOPE_SYS
.LBB1_30:
	s_wait_xcnt 0x0
	s_or_b32 exec_lo, exec_lo, s10
	s_wait_loadcnt 0x0
	global_load_b64 v[2:3], v[0:1], off offset:16
	s_wait_loadcnt 0x0
	v_cmp_eq_u64_e32 vcc_lo, 0, v[2:3]
	s_cbranch_vccnz .LBB1_32
; %bb.31:
	global_load_b32 v0, v[0:1], off offset:24
	s_wait_xcnt 0x0
	v_mov_b32_e32 v1, 0
	s_wait_loadcnt 0x0
	v_readfirstlane_b32 s10, v0
	global_wb scope:SCOPE_SYS
	s_wait_storecnt 0x0
	global_store_b64 v[2:3], v[0:1], off scope:SCOPE_SYS
	s_and_b32 m0, s10, 0xffffff
	s_sendmsg sendmsg(MSG_INTERRUPT)
.LBB1_32:
	s_wait_xcnt 0x0
	s_or_b32 exec_lo, exec_lo, s1
.LBB1_33:                               ; =>This Inner Loop Header: Depth=1
	v_mov_b32_e32 v0, 1
	s_and_saveexec_b32 s1, s0
	s_cbranch_execz .LBB1_35
; %bb.34:                               ;   in Loop: Header=BB1_33 Depth=1
	global_load_b32 v0, v[8:9], off offset:20 scope:SCOPE_SYS
	s_wait_loadcnt 0x0
	global_inv scope:SCOPE_SYS
	v_and_b32_e32 v0, 1, v0
.LBB1_35:                               ;   in Loop: Header=BB1_33 Depth=1
	s_wait_xcnt 0x0
	s_or_b32 exec_lo, exec_lo, s1
	s_delay_alu instid0(VALU_DEP_1)
	v_readfirstlane_b32 s1, v0
	s_cmp_eq_u32 s1, 0
	s_cbranch_scc1 .LBB1_37
; %bb.36:                               ;   in Loop: Header=BB1_33 Depth=1
	s_mov_b32 s1, 0
	s_sleep 1
	s_branch .LBB1_38
.LBB1_37:                               ;   in Loop: Header=BB1_33 Depth=1
	s_mov_b32 s1, -1
.LBB1_38:                               ;   in Loop: Header=BB1_33 Depth=1
	s_delay_alu instid0(SALU_CYCLE_1)
	s_and_not1_b32 vcc_lo, exec_lo, s1
	s_cbranch_vccnz .LBB1_33
; %bb.39:
	s_and_saveexec_b32 s10, s0
	s_cbranch_execz .LBB1_43
; %bb.40:
	v_mov_b32_e32 v6, 0
	s_clause 0x2
	global_load_b64 v[0:1], v6, s[2:3] offset:40
	global_load_b64 v[10:11], v6, s[2:3] offset:24 scope:SCOPE_SYS
	global_load_b64 v[2:3], v6, s[2:3]
	s_wait_loadcnt 0x2
	v_readfirstlane_b32 s12, v0
	v_readfirstlane_b32 s13, v1
	s_add_nc_u64 s[0:1], s[12:13], 1
	s_delay_alu instid0(SALU_CYCLE_1) | instskip(NEXT) | instid1(SALU_CYCLE_1)
	s_add_nc_u64 s[4:5], s[0:1], s[4:5]
	s_cmp_eq_u64 s[4:5], 0
	s_cselect_b32 s1, s1, s5
	s_cselect_b32 s0, s0, s4
	v_mov_b32_e32 v9, s1
	s_and_b64 s[4:5], s[0:1], s[12:13]
	v_mov_b32_e32 v8, s0
	s_mul_u64 s[4:5], s[4:5], 24
	s_wait_loadcnt 0x0
	v_add_nc_u64_e32 v[4:5], s[4:5], v[2:3]
	global_store_b64 v[4:5], v[10:11], off
	global_wb scope:SCOPE_SYS
	s_wait_storecnt 0x0
	s_wait_xcnt 0x0
	global_atomic_cmpswap_b64 v[2:3], v6, v[8:11], s[2:3] offset:24 th:TH_ATOMIC_RETURN scope:SCOPE_SYS
	s_wait_loadcnt 0x0
	v_cmp_ne_u64_e32 vcc_lo, v[2:3], v[10:11]
	s_and_b32 exec_lo, exec_lo, vcc_lo
	s_cbranch_execz .LBB1_43
; %bb.41:
	s_mov_b32 s4, 0
.LBB1_42:                               ; =>This Inner Loop Header: Depth=1
	v_dual_mov_b32 v0, s0 :: v_dual_mov_b32 v1, s1
	s_sleep 1
	global_store_b64 v[4:5], v[2:3], off
	global_wb scope:SCOPE_SYS
	s_wait_storecnt 0x0
	s_wait_xcnt 0x0
	global_atomic_cmpswap_b64 v[0:1], v6, v[0:3], s[2:3] offset:24 th:TH_ATOMIC_RETURN scope:SCOPE_SYS
	s_wait_loadcnt 0x0
	v_cmp_eq_u64_e32 vcc_lo, v[0:1], v[2:3]
	v_mov_b64_e32 v[2:3], v[0:1]
	s_or_b32 s4, vcc_lo, s4
	s_delay_alu instid0(SALU_CYCLE_1)
	s_and_not1_b32 exec_lo, exec_lo, s4
	s_cbranch_execnz .LBB1_42
.LBB1_43:
	s_or_b32 exec_lo, exec_lo, s10
	s_delay_alu instid0(SALU_CYCLE_1) | instskip(NEXT) | instid1(SALU_CYCLE_1)
	s_mov_b32 s0, exec_lo
	v_mbcnt_lo_u32_b32 v0, s0, 0
	s_delay_alu instid0(VALU_DEP_1) | instskip(SKIP_1) | instid1(SALU_CYCLE_1)
	v_cmp_eq_u32_e32 vcc_lo, 0, v0
	s_and_b32 s1, exec_lo, vcc_lo
	s_mov_b32 exec_lo, s1
	s_cbranch_execz .LBB1_46
; %bb.44:
	s_mov_b32 s1, exec_lo
	s_delay_alu instid0(SALU_CYCLE_1) | instskip(NEXT) | instid1(VALU_DEP_1)
	v_mbcnt_lo_u32_b32 v0, s1, 0
	v_cmp_eq_u32_e32 vcc_lo, 0, v0
	s_and_b32 s2, exec_lo, vcc_lo
	s_delay_alu instid0(SALU_CYCLE_1)
	s_mov_b32 exec_lo, s2
	s_cbranch_execz .LBB1_46
; %bb.45:
	s_load_b64 s[2:3], s[8:9], 0x60
	s_bcnt1_i32_b32 s0, s0
	s_bcnt1_i32_b32 s1, s1
	s_delay_alu instid0(SALU_CYCLE_1) | instskip(NEXT) | instid1(SALU_CYCLE_1)
	s_mul_i32 s0, s0, s1
	v_dual_mov_b32 v1, 0 :: v_dual_mov_b32 v0, s0
	s_wait_xcnt 0x0
	s_wait_kmcnt 0x0
	global_atomic_sub_u64 v1, v[0:1], s[2:3] offset:108680 scope:SCOPE_DEV
.LBB1_46:
	s_wait_xcnt 0x0
	s_or_b32 exec_lo, exec_lo, s7
.LBB1_47:
	s_delay_alu instid0(SALU_CYCLE_1)
	s_or_b32 exec_lo, exec_lo, s6
	s_wait_loadcnt 0x0
	s_wait_kmcnt 0x0
	s_set_pc_i64 s[30:31]
.Lfunc_end1:
	.size	__ockl_dm_dealloc, .Lfunc_end1-__ockl_dm_dealloc
                                        ; -- End function
	.set .L__ockl_dm_dealloc.num_vgpr, 22
	.set .L__ockl_dm_dealloc.num_agpr, 0
	.set .L__ockl_dm_dealloc.numbered_sgpr, 32
	.set .L__ockl_dm_dealloc.num_named_barrier, 0
	.set .L__ockl_dm_dealloc.private_seg_size, 0
	.set .L__ockl_dm_dealloc.uses_vcc, 1
	.set .L__ockl_dm_dealloc.uses_flat_scratch, 0
	.set .L__ockl_dm_dealloc.has_dyn_sized_stack, 0
	.set .L__ockl_dm_dealloc.has_recursion, 0
	.set .L__ockl_dm_dealloc.has_indirect_call, 0
	.section	.AMDGPU.csdata,"",@progbits
; Function info:
; codeLenInByte = 2340
; TotalNumSgprs: 34
; NumVgprs: 22
; ScratchSize: 0
; MemoryBound: 0
	.section	.text._ZL29kerBlockLevelMemoryAllocationPii,"axG",@progbits,_ZL29kerBlockLevelMemoryAllocationPii,comdat
	.globl	_ZL29kerBlockLevelMemoryAllocationPii ; -- Begin function _ZL29kerBlockLevelMemoryAllocationPii
	.p2align	8
	.type	_ZL29kerBlockLevelMemoryAllocationPii,@function
_ZL29kerBlockLevelMemoryAllocationPii:  ; @_ZL29kerBlockLevelMemoryAllocationPii
; %bb.0:
	s_load_b32 s2, s[0:1], 0x1c
	s_bfe_u32 s3, ttmp6, 0x4000c
	s_and_b32 s4, ttmp6, 15
	s_add_co_i32 s3, s3, 1
	s_mov_b32 s37, 0
	s_mul_i32 s3, ttmp9, s3
	s_mov_b32 s32, 0
	s_add_co_i32 s4, s4, s3
	s_getreg_b32 s3, hwreg(HW_REG_IB_STS2, 6, 4)
	s_delay_alu instid0(SALU_CYCLE_1) | instskip(SKIP_4) | instid1(SALU_CYCLE_1)
	s_cmp_eq_u32 s3, 0
	s_mov_b32 s3, exec_lo
	s_cselect_b32 s36, ttmp9, s4
	v_cmpx_ne_u32_e32 0, v0
	s_xor_b32 s3, exec_lo, s3
	s_or_saveexec_b32 s35, s3
	s_load_b32 s33, s[0:1], 0x8
	v_mov_b64_e32 v[2:3], s[36:37]
	s_wait_kmcnt 0x0
	s_and_b32 s34, s2, 0xffff
	s_get_pc_i64 s[38:39]
	s_add_nc_u64 s[38:39], s[38:39], _ZL7dev_mem@rel64+4
	s_xor_b32 exec_lo, exec_lo, s35
	s_cbranch_execz .LBB2_4
; %bb.1:
	s_lshl_b32 s50, s34, 2
	s_cmp_lg_u32 s33, 1
	s_cbranch_scc1 .LBB2_173
; %bb.2:
	s_branch .LBB2_174
.LBB2_3:
	s_wait_xcnt 0x0
	v_mov_b64_e32 v[2:3], s[36:37]
.LBB2_4:
	s_or_b32 exec_lo, exec_lo, s35
	s_delay_alu instid0(VALU_DEP_1)
	v_lshl_add_u64 v[2:3], v[2:3], 3, s[38:39]
	s_wait_storecnt 0x0
	s_barrier_signal -1
	s_barrier_wait -1
	global_load_b64 v[22:23], v[2:3], off
	s_mul_i32 s2, s36, s34
	s_mov_b32 s3, exec_lo
	v_add_nc_u32_e32 v29, s2, v0
	s_wait_loadcnt 0x0
	v_cmpx_ne_u64_e32 0, v[22:23]
	s_xor_b32 s18, exec_lo, s3
	s_cbranch_execz .LBB2_12
; %bb.5:
	v_dual_mov_b32 v3, 0 :: v_dual_lshlrev_b32 v2, 2, v0
	s_add_co_i32 s3, s34, -1
	s_mov_b32 s19, exec_lo
	s_delay_alu instid0(VALU_DEP_1)
	v_add_nc_u64_e32 v[2:3], v[22:23], v[2:3]
	flat_store_b32 v[2:3], v29
	s_wait_storecnt_dscnt 0x0
	s_barrier_signal -1
	s_barrier_wait -1
	s_wait_xcnt 0x0
	v_cmpx_eq_u32_e64 s3, v0
	s_cbranch_execz .LBB2_11
; %bb.6:
	s_cmp_eq_u32 s34, 0
	s_mov_b32 s35, 0
	s_cbranch_scc1 .LBB2_9
; %bb.7:
	s_load_b64 s[4:5], s[0:1], 0x0
	v_mov_b64_e32 v[0:1], v[22:23]
	s_mov_b32 s3, s35
	v_mov_b32_e32 v2, 0
	s_lshl_b64 s[2:3], s[2:3], 2
	s_wait_kmcnt 0x0
	s_add_nc_u64 s[2:3], s[4:5], s[2:3]
.LBB2_8:                                ; =>This Inner Loop Header: Depth=1
	flat_load_b32 v3, v[0:1]
	s_wait_xcnt 0x0
	v_add_nc_u64_e32 v[0:1], 4, v[0:1]
	s_add_nc_u64 s[34:35], s[34:35], -1
	s_delay_alu instid0(SALU_CYCLE_1)
	s_cmp_eq_u64 s[34:35], 0
	s_wait_loadcnt_dscnt 0x0
	global_store_b32 v2, v3, s[2:3]
	s_wait_xcnt 0x0
	s_add_nc_u64 s[2:3], s[2:3], 4
	s_cbranch_scc0 .LBB2_8
.LBB2_9:
	s_cmp_lg_u32 s33, 1
	s_mov_b32 s2, -1
	s_cbranch_scc1 .LBB2_175
; %bb.10:
	s_and_not1_b32 vcc_lo, exec_lo, s2
	s_cbranch_vccz .LBB2_176
.LBB2_11:
	s_or_b32 exec_lo, exec_lo, s19
                                        ; implicit-def: $vgpr29
.LBB2_12:
	s_and_not1_saveexec_b32 s2, s18
	s_cbranch_execz .LBB2_172
; %bb.13:
	s_add_nc_u64 s[0:1], s[0:1], 16
	v_mbcnt_lo_u32_b32 v34, -1, 0
	s_load_b64 s[2:3], s[0:1], 0x50
	v_mov_b64_e32 v[2:3], 0
	s_wait_xcnt 0x0
	s_delay_alu instid0(VALU_DEP_2) | instskip(NEXT) | instid1(VALU_DEP_1)
	v_readfirstlane_b32 s0, v34
	v_cmp_eq_u32_e64 s0, s0, v34
	s_and_saveexec_b32 s1, s0
	s_cbranch_execz .LBB2_19
; %bb.14:
	v_mov_b32_e32 v0, 0
	s_mov_b32 s4, exec_lo
	s_wait_kmcnt 0x0
	global_load_b64 v[4:5], v0, s[2:3] offset:24 scope:SCOPE_SYS
	s_wait_loadcnt 0x0
	global_inv scope:SCOPE_SYS
	s_clause 0x1
	global_load_b64 v[2:3], v0, s[2:3] offset:40
	global_load_b64 v[6:7], v0, s[2:3]
	s_wait_loadcnt 0x1
	v_and_b32_e32 v2, v2, v4
	v_and_b32_e32 v3, v3, v5
	s_delay_alu instid0(VALU_DEP_1) | instskip(SKIP_1) | instid1(VALU_DEP_1)
	v_mul_u64_e32 v[2:3], 24, v[2:3]
	s_wait_loadcnt 0x0
	v_add_nc_u64_e32 v[2:3], v[6:7], v[2:3]
	global_load_b64 v[2:3], v[2:3], off scope:SCOPE_SYS
	s_wait_xcnt 0x0
	s_wait_loadcnt 0x0
	global_atomic_cmpswap_b64 v[2:3], v0, v[2:5], s[2:3] offset:24 th:TH_ATOMIC_RETURN scope:SCOPE_SYS
	s_wait_loadcnt 0x0
	global_inv scope:SCOPE_SYS
	s_wait_xcnt 0x0
	v_cmpx_ne_u64_e64 v[2:3], v[4:5]
	s_cbranch_execz .LBB2_18
; %bb.15:
	s_mov_b32 s5, 0
.LBB2_16:                               ; =>This Inner Loop Header: Depth=1
	s_sleep 1
	s_clause 0x1
	global_load_b64 v[6:7], v0, s[2:3] offset:40
	global_load_b64 v[8:9], v0, s[2:3]
	v_mov_b64_e32 v[4:5], v[2:3]
	s_wait_loadcnt 0x1
	s_delay_alu instid0(VALU_DEP_1) | instskip(SKIP_1) | instid1(VALU_DEP_1)
	v_and_b32_e32 v1, v6, v4
	s_wait_loadcnt 0x0
	v_mad_nc_u64_u32 v[2:3], v1, 24, v[8:9]
	s_delay_alu instid0(VALU_DEP_3) | instskip(NEXT) | instid1(VALU_DEP_1)
	v_and_b32_e32 v1, v7, v5
	v_mad_u32 v3, v1, 24, v3
	global_load_b64 v[2:3], v[2:3], off scope:SCOPE_SYS
	s_wait_xcnt 0x0
	s_wait_loadcnt 0x0
	global_atomic_cmpswap_b64 v[2:3], v0, v[2:5], s[2:3] offset:24 th:TH_ATOMIC_RETURN scope:SCOPE_SYS
	s_wait_loadcnt 0x0
	global_inv scope:SCOPE_SYS
	v_cmp_eq_u64_e32 vcc_lo, v[2:3], v[4:5]
	s_or_b32 s5, vcc_lo, s5
	s_wait_xcnt 0x0
	s_and_not1_b32 exec_lo, exec_lo, s5
	s_cbranch_execnz .LBB2_16
; %bb.17:
	s_or_b32 exec_lo, exec_lo, s5
.LBB2_18:
	s_delay_alu instid0(SALU_CYCLE_1)
	s_or_b32 exec_lo, exec_lo, s4
.LBB2_19:
	s_delay_alu instid0(SALU_CYCLE_1)
	s_or_b32 exec_lo, exec_lo, s1
	v_readfirstlane_b32 s4, v2
	v_mov_b32_e32 v1, 0
	v_readfirstlane_b32 s5, v3
	s_mov_b32 s1, exec_lo
	s_wait_kmcnt 0x0
	s_clause 0x1
	global_load_b64 v[8:9], v1, s[2:3] offset:40
	global_load_b128 v[4:7], v1, s[2:3]
	s_wait_loadcnt 0x1
	v_and_b32_e32 v10, s4, v8
	v_and_b32_e32 v11, s5, v9
	s_delay_alu instid0(VALU_DEP_1) | instskip(SKIP_1) | instid1(VALU_DEP_1)
	v_mul_u64_e32 v[2:3], 24, v[10:11]
	s_wait_loadcnt 0x0
	v_add_nc_u64_e32 v[8:9], v[4:5], v[2:3]
	s_wait_xcnt 0x0
	s_and_saveexec_b32 s6, s0
	s_cbranch_execz .LBB2_21
; %bb.20:
	v_mov_b64_e32 v[2:3], 0x100000002
	v_mov_b32_e32 v0, s1
	global_store_b128 v[8:9], v[0:3], off offset:8
.LBB2_21:
	s_wait_xcnt 0x0
	s_or_b32 exec_lo, exec_lo, s6
	v_lshlrev_b64_e32 v[2:3], 12, v[10:11]
	s_mov_b32 s8, 0
	v_dual_lshlrev_b32 v0, 6, v34 :: v_dual_mov_b32 v10, 33
	s_mov_b32 s10, s8
	s_mov_b32 s11, s8
	;; [unrolled: 1-line block ×3, first 2 shown]
	s_delay_alu instid0(VALU_DEP_2)
	v_add_nc_u64_e32 v[6:7], v[6:7], v[2:3]
	v_mov_b64_e32 v[16:17], s[10:11]
	v_mov_b64_e32 v[14:15], s[8:9]
	v_dual_mov_b32 v11, v1 :: v_dual_mov_b32 v12, v1
	v_mov_b32_e32 v13, v1
	v_readfirstlane_b32 s6, v6
	v_readfirstlane_b32 s7, v7
	s_clause 0x3
	global_store_b128 v0, v[10:13], s[6:7]
	global_store_b128 v0, v[14:17], s[6:7] offset:16
	global_store_b128 v0, v[14:17], s[6:7] offset:32
	;; [unrolled: 1-line block ×3, first 2 shown]
	s_wait_xcnt 0x0
	s_and_saveexec_b32 s1, s0
	s_cbranch_execz .LBB2_29
; %bb.22:
	v_dual_mov_b32 v12, 0 :: v_dual_mov_b32 v15, s5
	s_mov_b32 s6, exec_lo
	s_clause 0x1
	global_load_b64 v[16:17], v12, s[2:3] offset:32 scope:SCOPE_SYS
	global_load_b64 v[2:3], v12, s[2:3] offset:40
	s_wait_loadcnt 0x0
	v_dual_mov_b32 v14, s4 :: v_dual_bitop2_b32 v3, s5, v3 bitop3:0x40
	v_and_b32_e32 v2, s4, v2
	s_delay_alu instid0(VALU_DEP_1) | instskip(NEXT) | instid1(VALU_DEP_1)
	v_mul_u64_e32 v[2:3], 24, v[2:3]
	v_add_nc_u64_e32 v[10:11], v[4:5], v[2:3]
	global_store_b64 v[10:11], v[16:17], off
	global_wb scope:SCOPE_SYS
	s_wait_storecnt 0x0
	s_wait_xcnt 0x0
	global_atomic_cmpswap_b64 v[4:5], v12, v[14:17], s[2:3] offset:32 th:TH_ATOMIC_RETURN scope:SCOPE_SYS
	s_wait_loadcnt 0x0
	v_cmpx_ne_u64_e64 v[4:5], v[16:17]
	s_cbranch_execz .LBB2_25
; %bb.23:
	s_mov_b32 s7, 0
.LBB2_24:                               ; =>This Inner Loop Header: Depth=1
	v_dual_mov_b32 v2, s4 :: v_dual_mov_b32 v3, s5
	s_sleep 1
	global_store_b64 v[10:11], v[4:5], off
	global_wb scope:SCOPE_SYS
	s_wait_storecnt 0x0
	s_wait_xcnt 0x0
	global_atomic_cmpswap_b64 v[2:3], v12, v[2:5], s[2:3] offset:32 th:TH_ATOMIC_RETURN scope:SCOPE_SYS
	s_wait_loadcnt 0x0
	v_cmp_eq_u64_e32 vcc_lo, v[2:3], v[4:5]
	v_mov_b64_e32 v[4:5], v[2:3]
	s_or_b32 s7, vcc_lo, s7
	s_delay_alu instid0(SALU_CYCLE_1)
	s_and_not1_b32 exec_lo, exec_lo, s7
	s_cbranch_execnz .LBB2_24
.LBB2_25:
	s_or_b32 exec_lo, exec_lo, s6
	v_mov_b32_e32 v5, 0
	s_mov_b32 s7, exec_lo
	s_mov_b32 s6, exec_lo
	v_mbcnt_lo_u32_b32 v4, s7, 0
	global_load_b64 v[2:3], v5, s[2:3] offset:16
	s_wait_xcnt 0x0
	v_cmpx_eq_u32_e32 0, v4
	s_cbranch_execz .LBB2_27
; %bb.26:
	s_bcnt1_i32_b32 s7, s7
	s_delay_alu instid0(SALU_CYCLE_1)
	v_mov_b32_e32 v4, s7
	global_wb scope:SCOPE_SYS
	s_wait_loadcnt 0x0
	s_wait_storecnt 0x0
	global_atomic_add_u64 v[2:3], v[4:5], off offset:8 scope:SCOPE_SYS
.LBB2_27:
	s_wait_xcnt 0x0
	s_or_b32 exec_lo, exec_lo, s6
	s_wait_loadcnt 0x0
	global_load_b64 v[4:5], v[2:3], off offset:16
	s_wait_loadcnt 0x0
	v_cmp_eq_u64_e32 vcc_lo, 0, v[4:5]
	s_cbranch_vccnz .LBB2_29
; %bb.28:
	global_load_b32 v2, v[2:3], off offset:24
	s_wait_xcnt 0x0
	v_mov_b32_e32 v3, 0
	s_wait_loadcnt 0x0
	v_readfirstlane_b32 s6, v2
	global_wb scope:SCOPE_SYS
	s_wait_storecnt 0x0
	global_store_b64 v[4:5], v[2:3], off scope:SCOPE_SYS
	s_and_b32 m0, s6, 0xffffff
	s_sendmsg sendmsg(MSG_INTERRUPT)
.LBB2_29:
	s_wait_xcnt 0x0
	s_or_b32 exec_lo, exec_lo, s1
	v_add_nc_u64_e32 v[2:3], v[6:7], v[0:1]
	s_branch .LBB2_33
.LBB2_30:                               ;   in Loop: Header=BB2_33 Depth=1
	s_wait_xcnt 0x0
	s_or_b32 exec_lo, exec_lo, s1
	s_delay_alu instid0(VALU_DEP_1)
	v_readfirstlane_b32 s1, v1
	s_cmp_eq_u32 s1, 0
	s_cbranch_scc1 .LBB2_32
; %bb.31:                               ;   in Loop: Header=BB2_33 Depth=1
	s_sleep 1
	s_cbranch_execnz .LBB2_33
	s_branch .LBB2_35
.LBB2_32:
	s_branch .LBB2_35
.LBB2_33:                               ; =>This Inner Loop Header: Depth=1
	v_mov_b32_e32 v1, 1
	s_and_saveexec_b32 s1, s0
	s_cbranch_execz .LBB2_30
; %bb.34:                               ;   in Loop: Header=BB2_33 Depth=1
	global_load_b32 v1, v[8:9], off offset:20 scope:SCOPE_SYS
	s_wait_loadcnt 0x0
	global_inv scope:SCOPE_SYS
	v_and_b32_e32 v1, 1, v1
	s_branch .LBB2_30
.LBB2_35:
	global_load_b64 v[2:3], v[2:3], off
	s_wait_xcnt 0x0
	s_and_saveexec_b32 s6, s0
	s_cbranch_execz .LBB2_39
; %bb.36:
	v_mov_b32_e32 v1, 0
	s_clause 0x2
	global_load_b64 v[4:5], v1, s[2:3] offset:40
	global_load_b64 v[12:13], v1, s[2:3] offset:24 scope:SCOPE_SYS
	global_load_b64 v[6:7], v1, s[2:3]
	s_wait_loadcnt 0x2
	v_readfirstlane_b32 s8, v4
	v_readfirstlane_b32 s9, v5
	s_add_nc_u64 s[0:1], s[8:9], 1
	s_delay_alu instid0(SALU_CYCLE_1) | instskip(NEXT) | instid1(SALU_CYCLE_1)
	s_add_nc_u64 s[4:5], s[0:1], s[4:5]
	s_cmp_eq_u64 s[4:5], 0
	s_cselect_b32 s1, s1, s5
	s_cselect_b32 s0, s0, s4
	v_mov_b32_e32 v11, s1
	s_and_b64 s[4:5], s[0:1], s[8:9]
	v_mov_b32_e32 v10, s0
	s_mul_u64 s[4:5], s[4:5], 24
	s_wait_loadcnt 0x0
	v_add_nc_u64_e32 v[8:9], s[4:5], v[6:7]
	global_store_b64 v[8:9], v[12:13], off
	global_wb scope:SCOPE_SYS
	s_wait_storecnt 0x0
	s_wait_xcnt 0x0
	global_atomic_cmpswap_b64 v[6:7], v1, v[10:13], s[2:3] offset:24 th:TH_ATOMIC_RETURN scope:SCOPE_SYS
	s_wait_loadcnt 0x0
	v_cmp_ne_u64_e32 vcc_lo, v[6:7], v[12:13]
	s_and_b32 exec_lo, exec_lo, vcc_lo
	s_cbranch_execz .LBB2_39
; %bb.37:
	s_mov_b32 s4, 0
.LBB2_38:                               ; =>This Inner Loop Header: Depth=1
	v_dual_mov_b32 v4, s0 :: v_dual_mov_b32 v5, s1
	s_sleep 1
	global_store_b64 v[8:9], v[6:7], off
	global_wb scope:SCOPE_SYS
	s_wait_storecnt 0x0
	s_wait_xcnt 0x0
	global_atomic_cmpswap_b64 v[4:5], v1, v[4:7], s[2:3] offset:24 th:TH_ATOMIC_RETURN scope:SCOPE_SYS
	s_wait_loadcnt 0x0
	v_cmp_eq_u64_e32 vcc_lo, v[4:5], v[6:7]
	v_mov_b64_e32 v[6:7], v[4:5]
	s_or_b32 s4, vcc_lo, s4
	s_delay_alu instid0(SALU_CYCLE_1)
	s_and_not1_b32 exec_lo, exec_lo, s4
	s_cbranch_execnz .LBB2_38
.LBB2_39:
	s_or_b32 exec_lo, exec_lo, s6
	s_get_pc_i64 s[4:5]
	s_add_nc_u64 s[4:5], s[4:5], .str@rel64+4
	s_delay_alu instid0(SALU_CYCLE_1)
	s_cmp_lg_u64 s[4:5], 0
	s_cbranch_scc0 .LBB2_118
; %bb.40:
	v_mov_b64_e32 v[10:11], 0x100000002
	s_wait_loadcnt 0x0
	v_dual_mov_b32 v9, 0 :: v_dual_bitop2_b32 v28, 2, v2 bitop3:0x40
	v_dual_mov_b32 v5, v3 :: v_dual_bitop2_b32 v4, -3, v2 bitop3:0x40
	s_mov_b64 s[6:7], 42
	s_branch .LBB2_42
.LBB2_41:                               ;   in Loop: Header=BB2_42 Depth=1
	s_or_b32 exec_lo, exec_lo, s12
	s_sub_nc_u64 s[6:7], s[6:7], s[8:9]
	s_add_nc_u64 s[4:5], s[4:5], s[8:9]
	s_cmp_lg_u64 s[6:7], 0
	s_cbranch_scc0 .LBB2_117
.LBB2_42:                               ; =>This Loop Header: Depth=1
                                        ;     Child Loop BB2_45 Depth 2
                                        ;     Child Loop BB2_52 Depth 2
	;; [unrolled: 1-line block ×11, first 2 shown]
	v_min_u64 v[6:7], s[6:7], 56
	v_cmp_gt_u64_e64 s0, s[6:7], 7
	s_and_b32 vcc_lo, exec_lo, s0
	v_readfirstlane_b32 s8, v6
	v_readfirstlane_b32 s9, v7
	s_cbranch_vccnz .LBB2_47
; %bb.43:                               ;   in Loop: Header=BB2_42 Depth=1
	v_mov_b64_e32 v[6:7], 0
	s_cmp_eq_u64 s[6:7], 0
	s_cbranch_scc1 .LBB2_46
; %bb.44:                               ;   in Loop: Header=BB2_42 Depth=1
	s_mov_b64 s[0:1], 0
	s_mov_b64 s[10:11], 0
.LBB2_45:                               ;   Parent Loop BB2_42 Depth=1
                                        ; =>  This Inner Loop Header: Depth=2
	s_wait_xcnt 0x0
	s_add_nc_u64 s[12:13], s[4:5], s[10:11]
	s_add_nc_u64 s[10:11], s[10:11], 1
	global_load_u8 v1, v9, s[12:13]
	s_cmp_lg_u32 s8, s10
	s_wait_loadcnt 0x0
	v_and_b32_e32 v8, 0xffff, v1
	s_delay_alu instid0(VALU_DEP_1) | instskip(SKIP_1) | instid1(VALU_DEP_1)
	v_lshlrev_b64_e32 v[12:13], s0, v[8:9]
	s_add_nc_u64 s[0:1], s[0:1], 8
	v_or_b32_e32 v6, v12, v6
	s_delay_alu instid0(VALU_DEP_2)
	v_or_b32_e32 v7, v13, v7
	s_cbranch_scc1 .LBB2_45
.LBB2_46:                               ;   in Loop: Header=BB2_42 Depth=1
	s_mov_b64 s[10:11], s[4:5]
	s_mov_b32 s14, 0
	s_cbranch_execz .LBB2_48
	s_branch .LBB2_49
.LBB2_47:                               ;   in Loop: Header=BB2_42 Depth=1
	s_add_nc_u64 s[10:11], s[4:5], 8
	s_mov_b32 s14, 0
.LBB2_48:                               ;   in Loop: Header=BB2_42 Depth=1
	global_load_b64 v[6:7], v9, s[4:5]
	s_add_co_i32 s14, s8, -8
.LBB2_49:                               ;   in Loop: Header=BB2_42 Depth=1
	s_delay_alu instid0(SALU_CYCLE_1)
	s_cmp_gt_u32 s14, 7
	s_cbranch_scc1 .LBB2_54
; %bb.50:                               ;   in Loop: Header=BB2_42 Depth=1
	v_mov_b64_e32 v[12:13], 0
	s_cmp_eq_u32 s14, 0
	s_cbranch_scc1 .LBB2_53
; %bb.51:                               ;   in Loop: Header=BB2_42 Depth=1
	s_mov_b64 s[0:1], 0
	s_wait_xcnt 0x0
	s_mov_b64 s[12:13], 0
.LBB2_52:                               ;   Parent Loop BB2_42 Depth=1
                                        ; =>  This Inner Loop Header: Depth=2
	s_wait_xcnt 0x0
	s_add_nc_u64 s[16:17], s[10:11], s[12:13]
	s_add_nc_u64 s[12:13], s[12:13], 1
	global_load_u8 v1, v9, s[16:17]
	s_cmp_lg_u32 s14, s12
	s_wait_loadcnt 0x0
	v_and_b32_e32 v8, 0xffff, v1
	s_delay_alu instid0(VALU_DEP_1) | instskip(SKIP_1) | instid1(VALU_DEP_1)
	v_lshlrev_b64_e32 v[14:15], s0, v[8:9]
	s_add_nc_u64 s[0:1], s[0:1], 8
	v_or_b32_e32 v12, v14, v12
	s_delay_alu instid0(VALU_DEP_2)
	v_or_b32_e32 v13, v15, v13
	s_cbranch_scc1 .LBB2_52
.LBB2_53:                               ;   in Loop: Header=BB2_42 Depth=1
	s_wait_xcnt 0x0
	s_mov_b64 s[0:1], s[10:11]
	s_mov_b32 s15, 0
	s_cbranch_execz .LBB2_55
	s_branch .LBB2_56
.LBB2_54:                               ;   in Loop: Header=BB2_42 Depth=1
	s_add_nc_u64 s[0:1], s[10:11], 8
	s_wait_xcnt 0x0
                                        ; implicit-def: $vgpr12_vgpr13
	s_mov_b32 s15, 0
.LBB2_55:                               ;   in Loop: Header=BB2_42 Depth=1
	global_load_b64 v[12:13], v9, s[10:11]
	s_add_co_i32 s15, s14, -8
.LBB2_56:                               ;   in Loop: Header=BB2_42 Depth=1
	s_delay_alu instid0(SALU_CYCLE_1)
	s_cmp_gt_u32 s15, 7
	s_cbranch_scc1 .LBB2_61
; %bb.57:                               ;   in Loop: Header=BB2_42 Depth=1
	v_mov_b64_e32 v[14:15], 0
	s_cmp_eq_u32 s15, 0
	s_cbranch_scc1 .LBB2_60
; %bb.58:                               ;   in Loop: Header=BB2_42 Depth=1
	s_wait_xcnt 0x0
	s_mov_b64 s[10:11], 0
	s_mov_b64 s[12:13], 0
.LBB2_59:                               ;   Parent Loop BB2_42 Depth=1
                                        ; =>  This Inner Loop Header: Depth=2
	s_wait_xcnt 0x0
	s_add_nc_u64 s[16:17], s[0:1], s[12:13]
	s_add_nc_u64 s[12:13], s[12:13], 1
	global_load_u8 v1, v9, s[16:17]
	s_cmp_lg_u32 s15, s12
	s_wait_loadcnt 0x0
	v_and_b32_e32 v8, 0xffff, v1
	s_delay_alu instid0(VALU_DEP_1) | instskip(SKIP_1) | instid1(VALU_DEP_1)
	v_lshlrev_b64_e32 v[16:17], s10, v[8:9]
	s_add_nc_u64 s[10:11], s[10:11], 8
	v_or_b32_e32 v14, v16, v14
	s_delay_alu instid0(VALU_DEP_2)
	v_or_b32_e32 v15, v17, v15
	s_cbranch_scc1 .LBB2_59
.LBB2_60:                               ;   in Loop: Header=BB2_42 Depth=1
	s_wait_xcnt 0x0
	s_mov_b64 s[10:11], s[0:1]
	s_mov_b32 s14, 0
	s_cbranch_execz .LBB2_62
	s_branch .LBB2_63
.LBB2_61:                               ;   in Loop: Header=BB2_42 Depth=1
	s_wait_xcnt 0x0
	s_add_nc_u64 s[10:11], s[0:1], 8
	s_mov_b32 s14, 0
.LBB2_62:                               ;   in Loop: Header=BB2_42 Depth=1
	global_load_b64 v[14:15], v9, s[0:1]
	s_add_co_i32 s14, s15, -8
.LBB2_63:                               ;   in Loop: Header=BB2_42 Depth=1
	s_delay_alu instid0(SALU_CYCLE_1)
	s_cmp_gt_u32 s14, 7
	s_cbranch_scc1 .LBB2_68
; %bb.64:                               ;   in Loop: Header=BB2_42 Depth=1
	v_mov_b64_e32 v[16:17], 0
	s_cmp_eq_u32 s14, 0
	s_cbranch_scc1 .LBB2_67
; %bb.65:                               ;   in Loop: Header=BB2_42 Depth=1
	s_wait_xcnt 0x0
	s_mov_b64 s[0:1], 0
	s_mov_b64 s[12:13], 0
.LBB2_66:                               ;   Parent Loop BB2_42 Depth=1
                                        ; =>  This Inner Loop Header: Depth=2
	s_wait_xcnt 0x0
	s_add_nc_u64 s[16:17], s[10:11], s[12:13]
	s_add_nc_u64 s[12:13], s[12:13], 1
	global_load_u8 v1, v9, s[16:17]
	s_cmp_lg_u32 s14, s12
	s_wait_loadcnt 0x0
	v_and_b32_e32 v8, 0xffff, v1
	s_delay_alu instid0(VALU_DEP_1) | instskip(SKIP_1) | instid1(VALU_DEP_1)
	v_lshlrev_b64_e32 v[18:19], s0, v[8:9]
	s_add_nc_u64 s[0:1], s[0:1], 8
	v_or_b32_e32 v16, v18, v16
	s_delay_alu instid0(VALU_DEP_2)
	v_or_b32_e32 v17, v19, v17
	s_cbranch_scc1 .LBB2_66
.LBB2_67:                               ;   in Loop: Header=BB2_42 Depth=1
	s_wait_xcnt 0x0
	s_mov_b64 s[0:1], s[10:11]
	s_mov_b32 s15, 0
	s_cbranch_execz .LBB2_69
	s_branch .LBB2_70
.LBB2_68:                               ;   in Loop: Header=BB2_42 Depth=1
	s_wait_xcnt 0x0
	s_add_nc_u64 s[0:1], s[10:11], 8
                                        ; implicit-def: $vgpr16_vgpr17
	s_mov_b32 s15, 0
.LBB2_69:                               ;   in Loop: Header=BB2_42 Depth=1
	global_load_b64 v[16:17], v9, s[10:11]
	s_add_co_i32 s15, s14, -8
.LBB2_70:                               ;   in Loop: Header=BB2_42 Depth=1
	s_delay_alu instid0(SALU_CYCLE_1)
	s_cmp_gt_u32 s15, 7
	s_cbranch_scc1 .LBB2_75
; %bb.71:                               ;   in Loop: Header=BB2_42 Depth=1
	v_mov_b64_e32 v[18:19], 0
	s_cmp_eq_u32 s15, 0
	s_cbranch_scc1 .LBB2_74
; %bb.72:                               ;   in Loop: Header=BB2_42 Depth=1
	s_wait_xcnt 0x0
	s_mov_b64 s[10:11], 0
	s_mov_b64 s[12:13], 0
.LBB2_73:                               ;   Parent Loop BB2_42 Depth=1
                                        ; =>  This Inner Loop Header: Depth=2
	s_wait_xcnt 0x0
	s_add_nc_u64 s[16:17], s[0:1], s[12:13]
	s_add_nc_u64 s[12:13], s[12:13], 1
	global_load_u8 v1, v9, s[16:17]
	s_cmp_lg_u32 s15, s12
	s_wait_loadcnt 0x0
	v_and_b32_e32 v8, 0xffff, v1
	s_delay_alu instid0(VALU_DEP_1) | instskip(SKIP_1) | instid1(VALU_DEP_1)
	v_lshlrev_b64_e32 v[20:21], s10, v[8:9]
	s_add_nc_u64 s[10:11], s[10:11], 8
	v_or_b32_e32 v18, v20, v18
	s_delay_alu instid0(VALU_DEP_2)
	v_or_b32_e32 v19, v21, v19
	s_cbranch_scc1 .LBB2_73
.LBB2_74:                               ;   in Loop: Header=BB2_42 Depth=1
	s_wait_xcnt 0x0
	s_mov_b64 s[10:11], s[0:1]
	s_mov_b32 s14, 0
	s_cbranch_execz .LBB2_76
	s_branch .LBB2_77
.LBB2_75:                               ;   in Loop: Header=BB2_42 Depth=1
	s_wait_xcnt 0x0
	s_add_nc_u64 s[10:11], s[0:1], 8
	s_mov_b32 s14, 0
.LBB2_76:                               ;   in Loop: Header=BB2_42 Depth=1
	global_load_b64 v[18:19], v9, s[0:1]
	s_add_co_i32 s14, s15, -8
.LBB2_77:                               ;   in Loop: Header=BB2_42 Depth=1
	s_delay_alu instid0(SALU_CYCLE_1)
	s_cmp_gt_u32 s14, 7
	s_cbranch_scc1 .LBB2_82
; %bb.78:                               ;   in Loop: Header=BB2_42 Depth=1
	v_mov_b64_e32 v[20:21], 0
	s_cmp_eq_u32 s14, 0
	s_cbranch_scc1 .LBB2_81
; %bb.79:                               ;   in Loop: Header=BB2_42 Depth=1
	s_wait_xcnt 0x0
	s_mov_b64 s[0:1], 0
	s_mov_b64 s[12:13], 0
.LBB2_80:                               ;   Parent Loop BB2_42 Depth=1
                                        ; =>  This Inner Loop Header: Depth=2
	s_wait_xcnt 0x0
	s_add_nc_u64 s[16:17], s[10:11], s[12:13]
	s_add_nc_u64 s[12:13], s[12:13], 1
	global_load_u8 v1, v9, s[16:17]
	s_cmp_lg_u32 s14, s12
	s_wait_loadcnt 0x0
	v_and_b32_e32 v8, 0xffff, v1
	s_delay_alu instid0(VALU_DEP_1) | instskip(SKIP_1) | instid1(VALU_DEP_1)
	v_lshlrev_b64_e32 v[22:23], s0, v[8:9]
	s_add_nc_u64 s[0:1], s[0:1], 8
	v_or_b32_e32 v20, v22, v20
	s_delay_alu instid0(VALU_DEP_2)
	v_or_b32_e32 v21, v23, v21
	s_cbranch_scc1 .LBB2_80
.LBB2_81:                               ;   in Loop: Header=BB2_42 Depth=1
	s_wait_xcnt 0x0
	s_mov_b64 s[0:1], s[10:11]
	s_mov_b32 s15, 0
	s_cbranch_execz .LBB2_83
	s_branch .LBB2_84
.LBB2_82:                               ;   in Loop: Header=BB2_42 Depth=1
	s_wait_xcnt 0x0
	s_add_nc_u64 s[0:1], s[10:11], 8
                                        ; implicit-def: $vgpr20_vgpr21
	s_mov_b32 s15, 0
.LBB2_83:                               ;   in Loop: Header=BB2_42 Depth=1
	global_load_b64 v[20:21], v9, s[10:11]
	s_add_co_i32 s15, s14, -8
.LBB2_84:                               ;   in Loop: Header=BB2_42 Depth=1
	s_delay_alu instid0(SALU_CYCLE_1)
	s_cmp_gt_u32 s15, 7
	s_cbranch_scc1 .LBB2_89
; %bb.85:                               ;   in Loop: Header=BB2_42 Depth=1
	v_mov_b64_e32 v[22:23], 0
	s_cmp_eq_u32 s15, 0
	s_cbranch_scc1 .LBB2_88
; %bb.86:                               ;   in Loop: Header=BB2_42 Depth=1
	s_wait_xcnt 0x0
	s_mov_b64 s[10:11], 0
	s_mov_b64 s[12:13], s[0:1]
.LBB2_87:                               ;   Parent Loop BB2_42 Depth=1
                                        ; =>  This Inner Loop Header: Depth=2
	global_load_u8 v1, v9, s[12:13]
	s_add_co_i32 s15, s15, -1
	s_wait_xcnt 0x0
	s_add_nc_u64 s[12:13], s[12:13], 1
	s_cmp_lg_u32 s15, 0
	s_wait_loadcnt 0x0
	v_and_b32_e32 v8, 0xffff, v1
	s_delay_alu instid0(VALU_DEP_1) | instskip(SKIP_1) | instid1(VALU_DEP_1)
	v_lshlrev_b64_e32 v[24:25], s10, v[8:9]
	s_add_nc_u64 s[10:11], s[10:11], 8
	v_or_b32_e32 v22, v24, v22
	s_delay_alu instid0(VALU_DEP_2)
	v_or_b32_e32 v23, v25, v23
	s_cbranch_scc1 .LBB2_87
.LBB2_88:                               ;   in Loop: Header=BB2_42 Depth=1
	s_wait_xcnt 0x0
	s_cbranch_execz .LBB2_90
	s_branch .LBB2_91
.LBB2_89:                               ;   in Loop: Header=BB2_42 Depth=1
	s_wait_xcnt 0x0
.LBB2_90:                               ;   in Loop: Header=BB2_42 Depth=1
	global_load_b64 v[22:23], v9, s[0:1]
.LBB2_91:                               ;   in Loop: Header=BB2_42 Depth=1
	s_wait_xcnt 0x0
	v_readfirstlane_b32 s0, v34
	v_mov_b64_e32 v[30:31], 0
	s_delay_alu instid0(VALU_DEP_2)
	v_cmp_eq_u32_e64 s0, s0, v34
	s_and_saveexec_b32 s1, s0
	s_cbranch_execz .LBB2_97
; %bb.92:                               ;   in Loop: Header=BB2_42 Depth=1
	global_load_b64 v[26:27], v9, s[2:3] offset:24 scope:SCOPE_SYS
	s_wait_loadcnt 0x0
	global_inv scope:SCOPE_SYS
	s_clause 0x1
	global_load_b64 v[24:25], v9, s[2:3] offset:40
	global_load_b64 v[30:31], v9, s[2:3]
	s_mov_b32 s10, exec_lo
	s_wait_loadcnt 0x1
	v_and_b32_e32 v24, v24, v26
	v_and_b32_e32 v25, v25, v27
	s_delay_alu instid0(VALU_DEP_1) | instskip(SKIP_1) | instid1(VALU_DEP_1)
	v_mul_u64_e32 v[24:25], 24, v[24:25]
	s_wait_loadcnt 0x0
	v_add_nc_u64_e32 v[24:25], v[30:31], v[24:25]
	global_load_b64 v[24:25], v[24:25], off scope:SCOPE_SYS
	s_wait_xcnt 0x0
	s_wait_loadcnt 0x0
	global_atomic_cmpswap_b64 v[30:31], v9, v[24:27], s[2:3] offset:24 th:TH_ATOMIC_RETURN scope:SCOPE_SYS
	s_wait_loadcnt 0x0
	global_inv scope:SCOPE_SYS
	s_wait_xcnt 0x0
	v_cmpx_ne_u64_e64 v[30:31], v[26:27]
	s_cbranch_execz .LBB2_96
; %bb.93:                               ;   in Loop: Header=BB2_42 Depth=1
	s_mov_b32 s11, 0
.LBB2_94:                               ;   Parent Loop BB2_42 Depth=1
                                        ; =>  This Inner Loop Header: Depth=2
	s_sleep 1
	s_clause 0x1
	global_load_b64 v[24:25], v9, s[2:3] offset:40
	global_load_b64 v[32:33], v9, s[2:3]
	v_mov_b64_e32 v[26:27], v[30:31]
	s_wait_loadcnt 0x1
	s_delay_alu instid0(VALU_DEP_1) | instskip(SKIP_1) | instid1(VALU_DEP_1)
	v_and_b32_e32 v1, v24, v26
	s_wait_loadcnt 0x0
	v_mad_nc_u64_u32 v[30:31], v1, 24, v[32:33]
	s_delay_alu instid0(VALU_DEP_3) | instskip(NEXT) | instid1(VALU_DEP_1)
	v_and_b32_e32 v1, v25, v27
	v_mad_u32 v31, v1, 24, v31
	global_load_b64 v[24:25], v[30:31], off scope:SCOPE_SYS
	s_wait_xcnt 0x0
	s_wait_loadcnt 0x0
	global_atomic_cmpswap_b64 v[30:31], v9, v[24:27], s[2:3] offset:24 th:TH_ATOMIC_RETURN scope:SCOPE_SYS
	s_wait_loadcnt 0x0
	global_inv scope:SCOPE_SYS
	v_cmp_eq_u64_e32 vcc_lo, v[30:31], v[26:27]
	s_or_b32 s11, vcc_lo, s11
	s_wait_xcnt 0x0
	s_and_not1_b32 exec_lo, exec_lo, s11
	s_cbranch_execnz .LBB2_94
; %bb.95:                               ;   in Loop: Header=BB2_42 Depth=1
	s_or_b32 exec_lo, exec_lo, s11
.LBB2_96:                               ;   in Loop: Header=BB2_42 Depth=1
	s_delay_alu instid0(SALU_CYCLE_1)
	s_or_b32 exec_lo, exec_lo, s10
.LBB2_97:                               ;   in Loop: Header=BB2_42 Depth=1
	s_delay_alu instid0(SALU_CYCLE_1)
	s_or_b32 exec_lo, exec_lo, s1
	s_clause 0x1
	global_load_b64 v[32:33], v9, s[2:3] offset:40
	global_load_b128 v[24:27], v9, s[2:3]
	v_readfirstlane_b32 s10, v30
	v_readfirstlane_b32 s11, v31
	s_mov_b32 s1, exec_lo
	s_wait_loadcnt 0x1
	v_and_b32_e32 v32, s10, v32
	v_and_b32_e32 v33, s11, v33
	s_delay_alu instid0(VALU_DEP_1) | instskip(SKIP_1) | instid1(VALU_DEP_1)
	v_mul_u64_e32 v[30:31], 24, v[32:33]
	s_wait_loadcnt 0x0
	v_add_nc_u64_e32 v[30:31], v[24:25], v[30:31]
	s_wait_xcnt 0x0
	s_and_saveexec_b32 s12, s0
	s_cbranch_execz .LBB2_99
; %bb.98:                               ;   in Loop: Header=BB2_42 Depth=1
	v_mov_b32_e32 v8, s1
	global_store_b128 v[30:31], v[8:11], off offset:8
.LBB2_99:                               ;   in Loop: Header=BB2_42 Depth=1
	s_wait_xcnt 0x0
	s_or_b32 exec_lo, exec_lo, s12
	v_cmp_lt_u64_e64 vcc_lo, s[6:7], 57
	v_lshlrev_b64_e32 v[32:33], 12, v[32:33]
	v_and_b32_e32 v4, 0xffffff1f, v4
	s_lshl_b32 s1, s8, 2
	s_delay_alu instid0(SALU_CYCLE_1) | instskip(SKIP_1) | instid1(VALU_DEP_3)
	s_add_co_i32 s1, s1, 28
	v_cndmask_b32_e32 v1, 0, v28, vcc_lo
	v_add_nc_u64_e32 v[26:27], v[26:27], v[32:33]
	s_delay_alu instid0(VALU_DEP_2) | instskip(NEXT) | instid1(VALU_DEP_2)
	v_or_b32_e32 v1, v4, v1
	v_readfirstlane_b32 s12, v26
	s_delay_alu instid0(VALU_DEP_3) | instskip(NEXT) | instid1(VALU_DEP_3)
	v_readfirstlane_b32 s13, v27
	v_and_or_b32 v4, 0x1e0, s1, v1
	s_clause 0x3
	global_store_b128 v0, v[4:7], s[12:13]
	global_store_b128 v0, v[12:15], s[12:13] offset:16
	global_store_b128 v0, v[16:19], s[12:13] offset:32
	;; [unrolled: 1-line block ×3, first 2 shown]
	s_wait_xcnt 0x0
	s_and_saveexec_b32 s1, s0
	s_cbranch_execz .LBB2_107
; %bb.100:                              ;   in Loop: Header=BB2_42 Depth=1
	s_clause 0x1
	global_load_b64 v[16:17], v9, s[2:3] offset:32 scope:SCOPE_SYS
	global_load_b64 v[4:5], v9, s[2:3] offset:40
	s_mov_b32 s12, exec_lo
	v_dual_mov_b32 v14, s10 :: v_dual_mov_b32 v15, s11
	s_wait_loadcnt 0x0
	v_and_b32_e32 v5, s11, v5
	v_and_b32_e32 v4, s10, v4
	s_delay_alu instid0(VALU_DEP_1) | instskip(NEXT) | instid1(VALU_DEP_1)
	v_mul_u64_e32 v[4:5], 24, v[4:5]
	v_add_nc_u64_e32 v[12:13], v[24:25], v[4:5]
	global_store_b64 v[12:13], v[16:17], off
	global_wb scope:SCOPE_SYS
	s_wait_storecnt 0x0
	s_wait_xcnt 0x0
	global_atomic_cmpswap_b64 v[6:7], v9, v[14:17], s[2:3] offset:32 th:TH_ATOMIC_RETURN scope:SCOPE_SYS
	s_wait_loadcnt 0x0
	v_cmpx_ne_u64_e64 v[6:7], v[16:17]
	s_cbranch_execz .LBB2_103
; %bb.101:                              ;   in Loop: Header=BB2_42 Depth=1
	s_mov_b32 s13, 0
.LBB2_102:                              ;   Parent Loop BB2_42 Depth=1
                                        ; =>  This Inner Loop Header: Depth=2
	v_dual_mov_b32 v4, s10 :: v_dual_mov_b32 v5, s11
	s_sleep 1
	global_store_b64 v[12:13], v[6:7], off
	global_wb scope:SCOPE_SYS
	s_wait_storecnt 0x0
	s_wait_xcnt 0x0
	global_atomic_cmpswap_b64 v[4:5], v9, v[4:7], s[2:3] offset:32 th:TH_ATOMIC_RETURN scope:SCOPE_SYS
	s_wait_loadcnt 0x0
	v_cmp_eq_u64_e32 vcc_lo, v[4:5], v[6:7]
	v_mov_b64_e32 v[6:7], v[4:5]
	s_or_b32 s13, vcc_lo, s13
	s_delay_alu instid0(SALU_CYCLE_1)
	s_and_not1_b32 exec_lo, exec_lo, s13
	s_cbranch_execnz .LBB2_102
.LBB2_103:                              ;   in Loop: Header=BB2_42 Depth=1
	s_or_b32 exec_lo, exec_lo, s12
	global_load_b64 v[4:5], v9, s[2:3] offset:16
	s_mov_b32 s13, exec_lo
	s_mov_b32 s12, exec_lo
	v_mbcnt_lo_u32_b32 v1, s13, 0
	s_wait_xcnt 0x0
	s_delay_alu instid0(VALU_DEP_1)
	v_cmpx_eq_u32_e32 0, v1
	s_cbranch_execz .LBB2_105
; %bb.104:                              ;   in Loop: Header=BB2_42 Depth=1
	s_bcnt1_i32_b32 s13, s13
	s_delay_alu instid0(SALU_CYCLE_1)
	v_mov_b32_e32 v8, s13
	global_wb scope:SCOPE_SYS
	s_wait_loadcnt 0x0
	s_wait_storecnt 0x0
	global_atomic_add_u64 v[4:5], v[8:9], off offset:8 scope:SCOPE_SYS
.LBB2_105:                              ;   in Loop: Header=BB2_42 Depth=1
	s_wait_xcnt 0x0
	s_or_b32 exec_lo, exec_lo, s12
	s_wait_loadcnt 0x0
	global_load_b64 v[6:7], v[4:5], off offset:16
	s_wait_loadcnt 0x0
	v_cmp_eq_u64_e32 vcc_lo, 0, v[6:7]
	s_cbranch_vccnz .LBB2_107
; %bb.106:                              ;   in Loop: Header=BB2_42 Depth=1
	global_load_b32 v8, v[4:5], off offset:24
	s_wait_loadcnt 0x0
	v_readfirstlane_b32 s12, v8
	global_wb scope:SCOPE_SYS
	s_wait_storecnt 0x0
	s_wait_xcnt 0x0
	global_store_b64 v[6:7], v[8:9], off scope:SCOPE_SYS
	s_and_b32 m0, s12, 0xffffff
	s_sendmsg sendmsg(MSG_INTERRUPT)
.LBB2_107:                              ;   in Loop: Header=BB2_42 Depth=1
	s_wait_xcnt 0x0
	s_or_b32 exec_lo, exec_lo, s1
	v_mov_b32_e32 v1, v9
	s_delay_alu instid0(VALU_DEP_1)
	v_add_nc_u64_e32 v[4:5], v[26:27], v[0:1]
	s_branch .LBB2_111
.LBB2_108:                              ;   in Loop: Header=BB2_111 Depth=2
	s_wait_xcnt 0x0
	s_or_b32 exec_lo, exec_lo, s1
	s_delay_alu instid0(VALU_DEP_1)
	v_readfirstlane_b32 s1, v1
	s_cmp_eq_u32 s1, 0
	s_cbranch_scc1 .LBB2_110
; %bb.109:                              ;   in Loop: Header=BB2_111 Depth=2
	s_sleep 1
	s_cbranch_execnz .LBB2_111
	s_branch .LBB2_113
.LBB2_110:                              ;   in Loop: Header=BB2_42 Depth=1
	s_branch .LBB2_113
.LBB2_111:                              ;   Parent Loop BB2_42 Depth=1
                                        ; =>  This Inner Loop Header: Depth=2
	v_mov_b32_e32 v1, 1
	s_and_saveexec_b32 s1, s0
	s_cbranch_execz .LBB2_108
; %bb.112:                              ;   in Loop: Header=BB2_111 Depth=2
	global_load_b32 v1, v[30:31], off offset:20 scope:SCOPE_SYS
	s_wait_loadcnt 0x0
	global_inv scope:SCOPE_SYS
	v_and_b32_e32 v1, 1, v1
	s_branch .LBB2_108
.LBB2_113:                              ;   in Loop: Header=BB2_42 Depth=1
	global_load_b64 v[4:5], v[4:5], off
	s_wait_xcnt 0x0
	s_and_saveexec_b32 s12, s0
	s_cbranch_execz .LBB2_41
; %bb.114:                              ;   in Loop: Header=BB2_42 Depth=1
	s_clause 0x2
	global_load_b64 v[6:7], v9, s[2:3] offset:40
	global_load_b64 v[16:17], v9, s[2:3] offset:24 scope:SCOPE_SYS
	global_load_b64 v[12:13], v9, s[2:3]
	s_wait_loadcnt 0x2
	v_readfirstlane_b32 s14, v6
	v_readfirstlane_b32 s15, v7
	s_add_nc_u64 s[0:1], s[14:15], 1
	s_delay_alu instid0(SALU_CYCLE_1) | instskip(NEXT) | instid1(SALU_CYCLE_1)
	s_add_nc_u64 s[10:11], s[0:1], s[10:11]
	s_cmp_eq_u64 s[10:11], 0
	s_cselect_b32 s1, s1, s11
	s_cselect_b32 s0, s0, s10
	s_delay_alu instid0(SALU_CYCLE_1) | instskip(SKIP_1) | instid1(SALU_CYCLE_1)
	v_dual_mov_b32 v15, s1 :: v_dual_mov_b32 v14, s0
	s_and_b64 s[10:11], s[0:1], s[14:15]
	s_mul_u64 s[10:11], s[10:11], 24
	s_wait_loadcnt 0x0
	v_add_nc_u64_e32 v[6:7], s[10:11], v[12:13]
	global_store_b64 v[6:7], v[16:17], off
	global_wb scope:SCOPE_SYS
	s_wait_storecnt 0x0
	s_wait_xcnt 0x0
	global_atomic_cmpswap_b64 v[14:15], v9, v[14:17], s[2:3] offset:24 th:TH_ATOMIC_RETURN scope:SCOPE_SYS
	s_wait_loadcnt 0x0
	v_cmp_ne_u64_e32 vcc_lo, v[14:15], v[16:17]
	s_and_b32 exec_lo, exec_lo, vcc_lo
	s_cbranch_execz .LBB2_41
; %bb.115:                              ;   in Loop: Header=BB2_42 Depth=1
	s_mov_b32 s10, 0
.LBB2_116:                              ;   Parent Loop BB2_42 Depth=1
                                        ; =>  This Inner Loop Header: Depth=2
	v_dual_mov_b32 v12, s0 :: v_dual_mov_b32 v13, s1
	s_sleep 1
	global_store_b64 v[6:7], v[14:15], off
	global_wb scope:SCOPE_SYS
	s_wait_storecnt 0x0
	s_wait_xcnt 0x0
	global_atomic_cmpswap_b64 v[12:13], v9, v[12:15], s[2:3] offset:24 th:TH_ATOMIC_RETURN scope:SCOPE_SYS
	s_wait_loadcnt 0x0
	v_cmp_eq_u64_e32 vcc_lo, v[12:13], v[14:15]
	v_mov_b64_e32 v[14:15], v[12:13]
	s_or_b32 s10, vcc_lo, s10
	s_delay_alu instid0(SALU_CYCLE_1)
	s_and_not1_b32 exec_lo, exec_lo, s10
	s_cbranch_execnz .LBB2_116
	s_branch .LBB2_41
.LBB2_117:
	s_branch .LBB2_146
.LBB2_118:
                                        ; implicit-def: $vgpr4_vgpr5
	s_cbranch_execz .LBB2_146
; %bb.119:
	v_readfirstlane_b32 s0, v34
	s_wait_loadcnt 0x0
	v_mov_b64_e32 v[4:5], 0
	s_delay_alu instid0(VALU_DEP_2)
	v_cmp_eq_u32_e64 s0, s0, v34
	s_and_saveexec_b32 s1, s0
	s_cbranch_execz .LBB2_125
; %bb.120:
	v_mov_b32_e32 v1, 0
	s_mov_b32 s4, exec_lo
	global_load_b64 v[6:7], v1, s[2:3] offset:24 scope:SCOPE_SYS
	s_wait_loadcnt 0x0
	global_inv scope:SCOPE_SYS
	s_clause 0x1
	global_load_b64 v[4:5], v1, s[2:3] offset:40
	global_load_b64 v[8:9], v1, s[2:3]
	s_wait_loadcnt 0x1
	v_and_b32_e32 v4, v4, v6
	v_and_b32_e32 v5, v5, v7
	s_delay_alu instid0(VALU_DEP_1) | instskip(SKIP_1) | instid1(VALU_DEP_1)
	v_mul_u64_e32 v[4:5], 24, v[4:5]
	s_wait_loadcnt 0x0
	v_add_nc_u64_e32 v[4:5], v[8:9], v[4:5]
	global_load_b64 v[4:5], v[4:5], off scope:SCOPE_SYS
	s_wait_xcnt 0x0
	s_wait_loadcnt 0x0
	global_atomic_cmpswap_b64 v[4:5], v1, v[4:7], s[2:3] offset:24 th:TH_ATOMIC_RETURN scope:SCOPE_SYS
	s_wait_loadcnt 0x0
	global_inv scope:SCOPE_SYS
	s_wait_xcnt 0x0
	v_cmpx_ne_u64_e64 v[4:5], v[6:7]
	s_cbranch_execz .LBB2_124
; %bb.121:
	s_mov_b32 s5, 0
.LBB2_122:                              ; =>This Inner Loop Header: Depth=1
	s_sleep 1
	s_clause 0x1
	global_load_b64 v[8:9], v1, s[2:3] offset:40
	global_load_b64 v[10:11], v1, s[2:3]
	v_mov_b64_e32 v[6:7], v[4:5]
	s_wait_loadcnt 0x1
	s_delay_alu instid0(VALU_DEP_1) | instskip(NEXT) | instid1(VALU_DEP_2)
	v_and_b32_e32 v4, v8, v6
	v_and_b32_e32 v8, v9, v7
	s_wait_loadcnt 0x0
	s_delay_alu instid0(VALU_DEP_2) | instskip(NEXT) | instid1(VALU_DEP_1)
	v_mad_nc_u64_u32 v[4:5], v4, 24, v[10:11]
	v_mad_u32 v5, v8, 24, v5
	global_load_b64 v[4:5], v[4:5], off scope:SCOPE_SYS
	s_wait_xcnt 0x0
	s_wait_loadcnt 0x0
	global_atomic_cmpswap_b64 v[4:5], v1, v[4:7], s[2:3] offset:24 th:TH_ATOMIC_RETURN scope:SCOPE_SYS
	s_wait_loadcnt 0x0
	global_inv scope:SCOPE_SYS
	v_cmp_eq_u64_e32 vcc_lo, v[4:5], v[6:7]
	s_or_b32 s5, vcc_lo, s5
	s_wait_xcnt 0x0
	s_and_not1_b32 exec_lo, exec_lo, s5
	s_cbranch_execnz .LBB2_122
; %bb.123:
	s_or_b32 exec_lo, exec_lo, s5
.LBB2_124:
	s_delay_alu instid0(SALU_CYCLE_1)
	s_or_b32 exec_lo, exec_lo, s4
.LBB2_125:
	s_delay_alu instid0(SALU_CYCLE_1)
	s_or_b32 exec_lo, exec_lo, s1
	v_readfirstlane_b32 s4, v4
	v_mov_b32_e32 v1, 0
	v_readfirstlane_b32 s5, v5
	s_mov_b32 s1, exec_lo
	s_clause 0x1
	global_load_b64 v[10:11], v1, s[2:3] offset:40
	global_load_b128 v[6:9], v1, s[2:3]
	s_wait_loadcnt 0x1
	v_and_b32_e32 v4, s4, v10
	v_and_b32_e32 v5, s5, v11
	s_delay_alu instid0(VALU_DEP_1) | instskip(SKIP_1) | instid1(VALU_DEP_1)
	v_mul_u64_e32 v[10:11], 24, v[4:5]
	s_wait_loadcnt 0x0
	v_add_nc_u64_e32 v[10:11], v[6:7], v[10:11]
	s_wait_xcnt 0x0
	s_and_saveexec_b32 s6, s0
	s_cbranch_execz .LBB2_127
; %bb.126:
	v_mov_b64_e32 v[14:15], 0x100000002
	v_dual_mov_b32 v12, s1 :: v_dual_mov_b32 v13, v1
	global_store_b128 v[10:11], v[12:15], off offset:8
.LBB2_127:
	s_wait_xcnt 0x0
	s_or_b32 exec_lo, exec_lo, s6
	v_lshlrev_b64_e32 v[4:5], 12, v[4:5]
	s_mov_b32 s8, 0
	v_and_or_b32 v2, 0xffffff1f, v2, 32
	s_mov_b32 s10, s8
	s_mov_b32 s11, s8
	;; [unrolled: 1-line block ×3, first 2 shown]
	v_mov_b64_e32 v[14:15], s[10:11]
	v_add_nc_u64_e32 v[8:9], v[8:9], v[4:5]
	v_mov_b64_e32 v[12:13], s[8:9]
	v_dual_mov_b32 v4, v1 :: v_dual_mov_b32 v5, v1
	s_delay_alu instid0(VALU_DEP_3) | instskip(NEXT) | instid1(VALU_DEP_4)
	v_readfirstlane_b32 s6, v8
	v_readfirstlane_b32 s7, v9
	s_clause 0x3
	global_store_b128 v0, v[2:5], s[6:7]
	global_store_b128 v0, v[12:15], s[6:7] offset:16
	global_store_b128 v0, v[12:15], s[6:7] offset:32
	global_store_b128 v0, v[12:15], s[6:7] offset:48
	s_wait_xcnt 0x0
	s_and_saveexec_b32 s1, s0
	s_cbranch_execz .LBB2_135
; %bb.128:
	v_dual_mov_b32 v12, 0 :: v_dual_mov_b32 v15, s5
	s_mov_b32 s6, exec_lo
	s_clause 0x1
	global_load_b64 v[16:17], v12, s[2:3] offset:32 scope:SCOPE_SYS
	global_load_b64 v[2:3], v12, s[2:3] offset:40
	s_wait_loadcnt 0x0
	v_dual_mov_b32 v14, s4 :: v_dual_bitop2_b32 v3, s5, v3 bitop3:0x40
	v_and_b32_e32 v2, s4, v2
	s_delay_alu instid0(VALU_DEP_1) | instskip(NEXT) | instid1(VALU_DEP_1)
	v_mul_u64_e32 v[2:3], 24, v[2:3]
	v_add_nc_u64_e32 v[6:7], v[6:7], v[2:3]
	global_store_b64 v[6:7], v[16:17], off
	global_wb scope:SCOPE_SYS
	s_wait_storecnt 0x0
	s_wait_xcnt 0x0
	global_atomic_cmpswap_b64 v[4:5], v12, v[14:17], s[2:3] offset:32 th:TH_ATOMIC_RETURN scope:SCOPE_SYS
	s_wait_loadcnt 0x0
	v_cmpx_ne_u64_e64 v[4:5], v[16:17]
	s_cbranch_execz .LBB2_131
; %bb.129:
	s_mov_b32 s7, 0
.LBB2_130:                              ; =>This Inner Loop Header: Depth=1
	v_dual_mov_b32 v2, s4 :: v_dual_mov_b32 v3, s5
	s_sleep 1
	global_store_b64 v[6:7], v[4:5], off
	global_wb scope:SCOPE_SYS
	s_wait_storecnt 0x0
	s_wait_xcnt 0x0
	global_atomic_cmpswap_b64 v[2:3], v12, v[2:5], s[2:3] offset:32 th:TH_ATOMIC_RETURN scope:SCOPE_SYS
	s_wait_loadcnt 0x0
	v_cmp_eq_u64_e32 vcc_lo, v[2:3], v[4:5]
	v_mov_b64_e32 v[4:5], v[2:3]
	s_or_b32 s7, vcc_lo, s7
	s_delay_alu instid0(SALU_CYCLE_1)
	s_and_not1_b32 exec_lo, exec_lo, s7
	s_cbranch_execnz .LBB2_130
.LBB2_131:
	s_or_b32 exec_lo, exec_lo, s6
	v_mov_b32_e32 v5, 0
	s_mov_b32 s7, exec_lo
	s_mov_b32 s6, exec_lo
	v_mbcnt_lo_u32_b32 v4, s7, 0
	global_load_b64 v[2:3], v5, s[2:3] offset:16
	s_wait_xcnt 0x0
	v_cmpx_eq_u32_e32 0, v4
	s_cbranch_execz .LBB2_133
; %bb.132:
	s_bcnt1_i32_b32 s7, s7
	s_delay_alu instid0(SALU_CYCLE_1)
	v_mov_b32_e32 v4, s7
	global_wb scope:SCOPE_SYS
	s_wait_loadcnt 0x0
	s_wait_storecnt 0x0
	global_atomic_add_u64 v[2:3], v[4:5], off offset:8 scope:SCOPE_SYS
.LBB2_133:
	s_wait_xcnt 0x0
	s_or_b32 exec_lo, exec_lo, s6
	s_wait_loadcnt 0x0
	global_load_b64 v[4:5], v[2:3], off offset:16
	s_wait_loadcnt 0x0
	v_cmp_eq_u64_e32 vcc_lo, 0, v[4:5]
	s_cbranch_vccnz .LBB2_135
; %bb.134:
	global_load_b32 v2, v[2:3], off offset:24
	s_wait_xcnt 0x0
	v_mov_b32_e32 v3, 0
	s_wait_loadcnt 0x0
	v_readfirstlane_b32 s6, v2
	global_wb scope:SCOPE_SYS
	s_wait_storecnt 0x0
	global_store_b64 v[4:5], v[2:3], off scope:SCOPE_SYS
	s_and_b32 m0, s6, 0xffffff
	s_sendmsg sendmsg(MSG_INTERRUPT)
.LBB2_135:
	s_wait_xcnt 0x0
	s_or_b32 exec_lo, exec_lo, s1
	v_add_nc_u64_e32 v[2:3], v[8:9], v[0:1]
	s_branch .LBB2_139
.LBB2_136:                              ;   in Loop: Header=BB2_139 Depth=1
	s_wait_xcnt 0x0
	s_or_b32 exec_lo, exec_lo, s1
	s_delay_alu instid0(VALU_DEP_1)
	v_readfirstlane_b32 s1, v1
	s_cmp_eq_u32 s1, 0
	s_cbranch_scc1 .LBB2_138
; %bb.137:                              ;   in Loop: Header=BB2_139 Depth=1
	s_sleep 1
	s_cbranch_execnz .LBB2_139
	s_branch .LBB2_141
.LBB2_138:
	s_branch .LBB2_141
.LBB2_139:                              ; =>This Inner Loop Header: Depth=1
	v_mov_b32_e32 v1, 1
	s_and_saveexec_b32 s1, s0
	s_cbranch_execz .LBB2_136
; %bb.140:                              ;   in Loop: Header=BB2_139 Depth=1
	global_load_b32 v1, v[10:11], off offset:20 scope:SCOPE_SYS
	s_wait_loadcnt 0x0
	global_inv scope:SCOPE_SYS
	v_and_b32_e32 v1, 1, v1
	s_branch .LBB2_136
.LBB2_141:
	global_load_b64 v[4:5], v[2:3], off
	s_wait_xcnt 0x0
	s_and_saveexec_b32 s6, s0
	s_cbranch_execz .LBB2_145
; %bb.142:
	v_mov_b32_e32 v1, 0
	s_clause 0x2
	global_load_b64 v[2:3], v1, s[2:3] offset:40
	global_load_b64 v[10:11], v1, s[2:3] offset:24 scope:SCOPE_SYS
	global_load_b64 v[6:7], v1, s[2:3]
	s_wait_loadcnt 0x2
	v_readfirstlane_b32 s8, v2
	v_readfirstlane_b32 s9, v3
	s_add_nc_u64 s[0:1], s[8:9], 1
	s_delay_alu instid0(SALU_CYCLE_1) | instskip(NEXT) | instid1(SALU_CYCLE_1)
	s_add_nc_u64 s[4:5], s[0:1], s[4:5]
	s_cmp_eq_u64 s[4:5], 0
	s_cselect_b32 s1, s1, s5
	s_cselect_b32 s0, s0, s4
	v_mov_b32_e32 v9, s1
	s_and_b64 s[4:5], s[0:1], s[8:9]
	v_mov_b32_e32 v8, s0
	s_mul_u64 s[4:5], s[4:5], 24
	s_wait_loadcnt 0x0
	v_add_nc_u64_e32 v[2:3], s[4:5], v[6:7]
	global_store_b64 v[2:3], v[10:11], off
	global_wb scope:SCOPE_SYS
	s_wait_storecnt 0x0
	s_wait_xcnt 0x0
	global_atomic_cmpswap_b64 v[8:9], v1, v[8:11], s[2:3] offset:24 th:TH_ATOMIC_RETURN scope:SCOPE_SYS
	s_wait_loadcnt 0x0
	v_cmp_ne_u64_e32 vcc_lo, v[8:9], v[10:11]
	s_and_b32 exec_lo, exec_lo, vcc_lo
	s_cbranch_execz .LBB2_145
; %bb.143:
	s_mov_b32 s4, 0
.LBB2_144:                              ; =>This Inner Loop Header: Depth=1
	v_dual_mov_b32 v6, s0 :: v_dual_mov_b32 v7, s1
	s_sleep 1
	global_store_b64 v[2:3], v[8:9], off
	global_wb scope:SCOPE_SYS
	s_wait_storecnt 0x0
	s_wait_xcnt 0x0
	global_atomic_cmpswap_b64 v[6:7], v1, v[6:9], s[2:3] offset:24 th:TH_ATOMIC_RETURN scope:SCOPE_SYS
	s_wait_loadcnt 0x0
	v_cmp_eq_u64_e32 vcc_lo, v[6:7], v[8:9]
	v_mov_b64_e32 v[8:9], v[6:7]
	s_or_b32 s4, vcc_lo, s4
	s_delay_alu instid0(SALU_CYCLE_1)
	s_and_not1_b32 exec_lo, exec_lo, s4
	s_cbranch_execnz .LBB2_144
.LBB2_145:
	s_or_b32 exec_lo, exec_lo, s6
.LBB2_146:
	v_readfirstlane_b32 s0, v34
	s_wait_loadcnt 0x0
	v_mov_b64_e32 v[2:3], 0
	s_delay_alu instid0(VALU_DEP_2)
	v_cmp_eq_u32_e64 s0, s0, v34
	s_and_saveexec_b32 s1, s0
	s_cbranch_execz .LBB2_152
; %bb.147:
	v_mov_b32_e32 v1, 0
	s_mov_b32 s4, exec_lo
	global_load_b64 v[8:9], v1, s[2:3] offset:24 scope:SCOPE_SYS
	s_wait_loadcnt 0x0
	global_inv scope:SCOPE_SYS
	s_clause 0x1
	global_load_b64 v[2:3], v1, s[2:3] offset:40
	global_load_b64 v[6:7], v1, s[2:3]
	s_wait_loadcnt 0x1
	v_and_b32_e32 v2, v2, v8
	v_and_b32_e32 v3, v3, v9
	s_delay_alu instid0(VALU_DEP_1) | instskip(SKIP_1) | instid1(VALU_DEP_1)
	v_mul_u64_e32 v[2:3], 24, v[2:3]
	s_wait_loadcnt 0x0
	v_add_nc_u64_e32 v[2:3], v[6:7], v[2:3]
	global_load_b64 v[6:7], v[2:3], off scope:SCOPE_SYS
	s_wait_xcnt 0x0
	s_wait_loadcnt 0x0
	global_atomic_cmpswap_b64 v[2:3], v1, v[6:9], s[2:3] offset:24 th:TH_ATOMIC_RETURN scope:SCOPE_SYS
	s_wait_loadcnt 0x0
	global_inv scope:SCOPE_SYS
	s_wait_xcnt 0x0
	v_cmpx_ne_u64_e64 v[2:3], v[8:9]
	s_cbranch_execz .LBB2_151
; %bb.148:
	s_mov_b32 s5, 0
.LBB2_149:                              ; =>This Inner Loop Header: Depth=1
	s_sleep 1
	s_clause 0x1
	global_load_b64 v[6:7], v1, s[2:3] offset:40
	global_load_b64 v[10:11], v1, s[2:3]
	v_mov_b64_e32 v[8:9], v[2:3]
	s_wait_loadcnt 0x1
	s_delay_alu instid0(VALU_DEP_1) | instskip(NEXT) | instid1(VALU_DEP_2)
	v_and_b32_e32 v2, v6, v8
	v_and_b32_e32 v6, v7, v9
	s_wait_loadcnt 0x0
	s_delay_alu instid0(VALU_DEP_2) | instskip(NEXT) | instid1(VALU_DEP_1)
	v_mad_nc_u64_u32 v[2:3], v2, 24, v[10:11]
	v_mad_u32 v3, v6, 24, v3
	global_load_b64 v[6:7], v[2:3], off scope:SCOPE_SYS
	s_wait_xcnt 0x0
	s_wait_loadcnt 0x0
	global_atomic_cmpswap_b64 v[2:3], v1, v[6:9], s[2:3] offset:24 th:TH_ATOMIC_RETURN scope:SCOPE_SYS
	s_wait_loadcnt 0x0
	global_inv scope:SCOPE_SYS
	v_cmp_eq_u64_e32 vcc_lo, v[2:3], v[8:9]
	s_or_b32 s5, vcc_lo, s5
	s_wait_xcnt 0x0
	s_and_not1_b32 exec_lo, exec_lo, s5
	s_cbranch_execnz .LBB2_149
; %bb.150:
	s_or_b32 exec_lo, exec_lo, s5
.LBB2_151:
	s_delay_alu instid0(SALU_CYCLE_1)
	s_or_b32 exec_lo, exec_lo, s4
.LBB2_152:
	s_delay_alu instid0(SALU_CYCLE_1)
	s_or_b32 exec_lo, exec_lo, s1
	v_readfirstlane_b32 s4, v2
	v_mov_b32_e32 v7, 0
	v_readfirstlane_b32 s5, v3
	s_mov_b32 s1, exec_lo
	s_clause 0x1
	global_load_b64 v[12:13], v7, s[2:3] offset:40
	global_load_b128 v[8:11], v7, s[2:3]
	s_wait_loadcnt 0x1
	v_and_b32_e32 v2, s4, v12
	v_and_b32_e32 v3, s5, v13
	s_delay_alu instid0(VALU_DEP_1) | instskip(SKIP_1) | instid1(VALU_DEP_1)
	v_mul_u64_e32 v[12:13], 24, v[2:3]
	s_wait_loadcnt 0x0
	v_add_nc_u64_e32 v[12:13], v[8:9], v[12:13]
	s_wait_xcnt 0x0
	s_and_saveexec_b32 s6, s0
	s_cbranch_execz .LBB2_154
; %bb.153:
	v_mov_b32_e32 v6, s1
	v_mov_b64_e32 v[16:17], 0x100000002
	s_delay_alu instid0(VALU_DEP_2)
	v_mov_b64_e32 v[14:15], v[6:7]
	global_store_b128 v[12:13], v[14:17], off offset:8
.LBB2_154:
	s_wait_xcnt 0x0
	s_or_b32 exec_lo, exec_lo, s6
	v_lshlrev_b64_e32 v[2:3], 12, v[2:3]
	s_mov_b32 s8, 0
	v_and_or_b32 v4, 0xffffff1d, v4, 34
	s_mov_b32 s10, s8
	s_mov_b32 s11, s8
	;; [unrolled: 1-line block ×3, first 2 shown]
	v_mov_b64_e32 v[16:17], s[10:11]
	v_add_nc_u64_e32 v[2:3], v[10:11], v[2:3]
	v_mov_b64_e32 v[14:15], s[8:9]
	v_mov_b32_e32 v6, v29
	s_delay_alu instid0(VALU_DEP_3) | instskip(NEXT) | instid1(VALU_DEP_4)
	v_readfirstlane_b32 s6, v2
	v_readfirstlane_b32 s7, v3
	s_clause 0x3
	global_store_b128 v0, v[4:7], s[6:7]
	global_store_b128 v0, v[14:17], s[6:7] offset:16
	global_store_b128 v0, v[14:17], s[6:7] offset:32
	;; [unrolled: 1-line block ×3, first 2 shown]
	s_wait_xcnt 0x0
	s_and_saveexec_b32 s1, s0
	s_cbranch_execz .LBB2_162
; %bb.155:
	v_mov_b32_e32 v6, 0
	s_mov_b32 s6, exec_lo
	s_clause 0x1
	global_load_b64 v[10:11], v6, s[2:3] offset:32 scope:SCOPE_SYS
	global_load_b64 v[0:1], v6, s[2:3] offset:40
	s_wait_loadcnt 0x0
	v_and_b32_e32 v0, s4, v0
	v_and_b32_e32 v1, s5, v1
	s_delay_alu instid0(VALU_DEP_1) | instskip(NEXT) | instid1(VALU_DEP_1)
	v_mul_u64_e32 v[0:1], 24, v[0:1]
	v_add_nc_u64_e32 v[4:5], v[8:9], v[0:1]
	v_dual_mov_b32 v8, s4 :: v_dual_mov_b32 v9, s5
	global_store_b64 v[4:5], v[10:11], off
	global_wb scope:SCOPE_SYS
	s_wait_storecnt 0x0
	s_wait_xcnt 0x0
	global_atomic_cmpswap_b64 v[2:3], v6, v[8:11], s[2:3] offset:32 th:TH_ATOMIC_RETURN scope:SCOPE_SYS
	s_wait_loadcnt 0x0
	v_cmpx_ne_u64_e64 v[2:3], v[10:11]
	s_cbranch_execz .LBB2_158
; %bb.156:
	s_mov_b32 s7, 0
.LBB2_157:                              ; =>This Inner Loop Header: Depth=1
	v_dual_mov_b32 v0, s4 :: v_dual_mov_b32 v1, s5
	s_sleep 1
	global_store_b64 v[4:5], v[2:3], off
	global_wb scope:SCOPE_SYS
	s_wait_storecnt 0x0
	s_wait_xcnt 0x0
	global_atomic_cmpswap_b64 v[0:1], v6, v[0:3], s[2:3] offset:32 th:TH_ATOMIC_RETURN scope:SCOPE_SYS
	s_wait_loadcnt 0x0
	v_cmp_eq_u64_e32 vcc_lo, v[0:1], v[2:3]
	v_mov_b64_e32 v[2:3], v[0:1]
	s_or_b32 s7, vcc_lo, s7
	s_delay_alu instid0(SALU_CYCLE_1)
	s_and_not1_b32 exec_lo, exec_lo, s7
	s_cbranch_execnz .LBB2_157
.LBB2_158:
	s_or_b32 exec_lo, exec_lo, s6
	v_mov_b32_e32 v3, 0
	s_mov_b32 s7, exec_lo
	s_mov_b32 s6, exec_lo
	v_mbcnt_lo_u32_b32 v2, s7, 0
	global_load_b64 v[0:1], v3, s[2:3] offset:16
	s_wait_xcnt 0x0
	v_cmpx_eq_u32_e32 0, v2
	s_cbranch_execz .LBB2_160
; %bb.159:
	s_bcnt1_i32_b32 s7, s7
	s_delay_alu instid0(SALU_CYCLE_1)
	v_mov_b32_e32 v2, s7
	global_wb scope:SCOPE_SYS
	s_wait_loadcnt 0x0
	s_wait_storecnt 0x0
	global_atomic_add_u64 v[0:1], v[2:3], off offset:8 scope:SCOPE_SYS
.LBB2_160:
	s_wait_xcnt 0x0
	s_or_b32 exec_lo, exec_lo, s6
	s_wait_loadcnt 0x0
	global_load_b64 v[2:3], v[0:1], off offset:16
	s_wait_loadcnt 0x0
	v_cmp_eq_u64_e32 vcc_lo, 0, v[2:3]
	s_cbranch_vccnz .LBB2_162
; %bb.161:
	global_load_b32 v0, v[0:1], off offset:24
	s_wait_xcnt 0x0
	v_mov_b32_e32 v1, 0
	s_wait_loadcnt 0x0
	v_readfirstlane_b32 s6, v0
	global_wb scope:SCOPE_SYS
	s_wait_storecnt 0x0
	global_store_b64 v[2:3], v[0:1], off scope:SCOPE_SYS
	s_and_b32 m0, s6, 0xffffff
	s_sendmsg sendmsg(MSG_INTERRUPT)
.LBB2_162:
	s_wait_xcnt 0x0
	s_or_b32 exec_lo, exec_lo, s1
	s_branch .LBB2_166
.LBB2_163:                              ;   in Loop: Header=BB2_166 Depth=1
	s_wait_xcnt 0x0
	s_or_b32 exec_lo, exec_lo, s1
	s_delay_alu instid0(VALU_DEP_1)
	v_readfirstlane_b32 s1, v0
	s_cmp_eq_u32 s1, 0
	s_cbranch_scc1 .LBB2_165
; %bb.164:                              ;   in Loop: Header=BB2_166 Depth=1
	s_sleep 1
	s_cbranch_execnz .LBB2_166
	s_branch .LBB2_168
.LBB2_165:
	s_branch .LBB2_168
.LBB2_166:                              ; =>This Inner Loop Header: Depth=1
	v_mov_b32_e32 v0, 1
	s_and_saveexec_b32 s1, s0
	s_cbranch_execz .LBB2_163
; %bb.167:                              ;   in Loop: Header=BB2_166 Depth=1
	global_load_b32 v0, v[12:13], off offset:20 scope:SCOPE_SYS
	s_wait_loadcnt 0x0
	global_inv scope:SCOPE_SYS
	v_and_b32_e32 v0, 1, v0
	s_branch .LBB2_163
.LBB2_168:
	s_and_saveexec_b32 s1, s0
	s_cbranch_execz .LBB2_172
; %bb.169:
	v_mov_b32_e32 v6, 0
	s_clause 0x2
	global_load_b64 v[0:1], v6, s[2:3] offset:40
	global_load_b64 v[10:11], v6, s[2:3] offset:24 scope:SCOPE_SYS
	global_load_b64 v[2:3], v6, s[2:3]
	s_wait_loadcnt 0x2
	v_readfirstlane_b32 s6, v0
	v_readfirstlane_b32 s7, v1
	s_add_nc_u64 s[0:1], s[6:7], 1
	s_delay_alu instid0(SALU_CYCLE_1) | instskip(NEXT) | instid1(SALU_CYCLE_1)
	s_add_nc_u64 s[4:5], s[0:1], s[4:5]
	s_cmp_eq_u64 s[4:5], 0
	s_cselect_b32 s1, s1, s5
	s_cselect_b32 s0, s0, s4
	v_mov_b32_e32 v9, s1
	s_and_b64 s[4:5], s[0:1], s[6:7]
	v_mov_b32_e32 v8, s0
	s_mul_u64 s[4:5], s[4:5], 24
	s_wait_loadcnt 0x0
	v_add_nc_u64_e32 v[4:5], s[4:5], v[2:3]
	global_store_b64 v[4:5], v[10:11], off
	global_wb scope:SCOPE_SYS
	s_wait_storecnt 0x0
	s_wait_xcnt 0x0
	global_atomic_cmpswap_b64 v[2:3], v6, v[8:11], s[2:3] offset:24 th:TH_ATOMIC_RETURN scope:SCOPE_SYS
	s_wait_loadcnt 0x0
	v_cmp_ne_u64_e32 vcc_lo, v[2:3], v[10:11]
	s_and_b32 exec_lo, exec_lo, vcc_lo
	s_cbranch_execz .LBB2_172
; %bb.170:
	s_mov_b32 s4, 0
.LBB2_171:                              ; =>This Inner Loop Header: Depth=1
	v_dual_mov_b32 v0, s0 :: v_dual_mov_b32 v1, s1
	s_sleep 1
	global_store_b64 v[4:5], v[2:3], off
	global_wb scope:SCOPE_SYS
	s_wait_storecnt 0x0
	s_wait_xcnt 0x0
	global_atomic_cmpswap_b64 v[0:1], v6, v[0:3], s[2:3] offset:24 th:TH_ATOMIC_RETURN scope:SCOPE_SYS
	s_wait_loadcnt 0x0
	v_cmp_eq_u64_e32 vcc_lo, v[0:1], v[2:3]
	v_mov_b64_e32 v[2:3], v[0:1]
	s_or_b32 s4, vcc_lo, s4
	s_delay_alu instid0(SALU_CYCLE_1)
	s_and_not1_b32 exec_lo, exec_lo, s4
	s_cbranch_execnz .LBB2_171
.LBB2_172:
	s_endpgm
.LBB2_173:
	s_max_u32 s4, s50, 1
	s_delay_alu instid0(SALU_CYCLE_1)
	v_dual_mov_b32 v40, v0 :: v_dual_mov_b32 v0, s4
	v_mov_b32_e32 v1, 0
	s_add_nc_u64 s[8:9], s[0:1], 16
	s_get_pc_i64 s[2:3]
	s_add_nc_u64 s[2:3], s[2:3], __ockl_dm_alloc@rel64+4
	s_mov_b64 s[48:49], s[0:1]
	s_swap_pc_i64 s[30:31], s[2:3]
	v_dual_mov_b32 v2, v0 :: v_dual_mov_b32 v0, v40
	v_dual_mov_b32 v3, v1 :: v_dual_mov_b32 v1, s36
	s_mov_b64 s[0:1], s[48:49]
	s_mov_b32 s2, s37
	global_store_b64 v1, v[2:3], s[38:39] scale_offset
	s_and_not1_b32 vcc_lo, exec_lo, s2
	s_cbranch_vccnz .LBB2_3
.LBB2_174:
	v_dual_mov_b32 v41, 0 :: v_dual_mov_b32 v40, v0
	s_wait_xcnt 0x0
	v_dual_mov_b32 v0, s50 :: v_dual_mov_b32 v1, 0
	s_add_nc_u64 s[8:9], s[0:1], 16
	s_get_pc_i64 s[2:3]
	s_add_nc_u64 s[2:3], s[2:3], __ockl_dm_alloc@rel64+4
	s_mov_b64 s[48:49], s[0:1]
	s_swap_pc_i64 s[30:31], s[2:3]
	v_dual_mov_b32 v2, v0 :: v_dual_mov_b32 v0, v40
	v_mov_b32_e32 v3, v1
	s_lshl_b64 s[2:3], s[36:37], 3
	s_mov_b64 s[0:1], s[48:49]
	s_add_nc_u64 s[2:3], s[38:39], s[2:3]
	global_store_b64 v41, v[2:3], s[2:3]
	s_branch .LBB2_3
.LBB2_175:
	v_dual_mov_b32 v0, v22 :: v_dual_mov_b32 v1, v23
	s_add_nc_u64 s[8:9], s[0:1], 16
	s_get_pc_i64 s[2:3]
	s_add_nc_u64 s[2:3], s[2:3], __ockl_dm_dealloc@rel64+4
	s_mov_b64 s[16:17], s[0:1]
	s_swap_pc_i64 s[30:31], s[2:3]
	s_mov_b64 s[0:1], s[16:17]
	s_cbranch_execnz .LBB2_11
.LBB2_176:
	v_dual_mov_b32 v0, v22 :: v_dual_mov_b32 v1, v23
	s_add_nc_u64 s[8:9], s[0:1], 16
	s_get_pc_i64 s[2:3]
	s_add_nc_u64 s[2:3], s[2:3], __ockl_dm_dealloc@rel64+4
	s_mov_b64 s[16:17], s[0:1]
	s_swap_pc_i64 s[30:31], s[2:3]
	s_mov_b64 s[0:1], s[16:17]
	s_branch .LBB2_11
	.section	.rodata,"a",@progbits
	.p2align	6, 0x0
	.amdhsa_kernel _ZL29kerBlockLevelMemoryAllocationPii
		.amdhsa_group_segment_fixed_size 0
		.amdhsa_private_segment_fixed_size 0
		.amdhsa_kernarg_size 272
		.amdhsa_user_sgpr_count 2
		.amdhsa_user_sgpr_dispatch_ptr 0
		.amdhsa_user_sgpr_queue_ptr 0
		.amdhsa_user_sgpr_kernarg_segment_ptr 1
		.amdhsa_user_sgpr_dispatch_id 0
		.amdhsa_user_sgpr_kernarg_preload_length 0
		.amdhsa_user_sgpr_kernarg_preload_offset 0
		.amdhsa_user_sgpr_private_segment_size 0
		.amdhsa_wavefront_size32 1
		.amdhsa_uses_dynamic_stack 0
		.amdhsa_enable_private_segment 0
		.amdhsa_system_sgpr_workgroup_id_x 1
		.amdhsa_system_sgpr_workgroup_id_y 0
		.amdhsa_system_sgpr_workgroup_id_z 0
		.amdhsa_system_sgpr_workgroup_info 0
		.amdhsa_system_vgpr_workitem_id 0
		.amdhsa_next_free_vgpr 100
		.amdhsa_next_free_sgpr 62
		.amdhsa_named_barrier_count 0
		.amdhsa_reserve_vcc 1
		.amdhsa_float_round_mode_32 0
		.amdhsa_float_round_mode_16_64 0
		.amdhsa_float_denorm_mode_32 3
		.amdhsa_float_denorm_mode_16_64 3
		.amdhsa_fp16_overflow 0
		.amdhsa_memory_ordered 1
		.amdhsa_forward_progress 1
		.amdhsa_inst_pref_size 59
		.amdhsa_round_robin_scheduling 0
		.amdhsa_exception_fp_ieee_invalid_op 0
		.amdhsa_exception_fp_denorm_src 0
		.amdhsa_exception_fp_ieee_div_zero 0
		.amdhsa_exception_fp_ieee_overflow 0
		.amdhsa_exception_fp_ieee_underflow 0
		.amdhsa_exception_fp_ieee_inexact 0
		.amdhsa_exception_int_div_zero 0
	.end_amdhsa_kernel
	.section	.text._ZL29kerBlockLevelMemoryAllocationPii,"axG",@progbits,_ZL29kerBlockLevelMemoryAllocationPii,comdat
.Lfunc_end2:
	.size	_ZL29kerBlockLevelMemoryAllocationPii, .Lfunc_end2-_ZL29kerBlockLevelMemoryAllocationPii
                                        ; -- End function
	.set _ZL29kerBlockLevelMemoryAllocationPii.num_vgpr, max(42, .L__ockl_dm_alloc.num_vgpr, .L__ockl_dm_dealloc.num_vgpr)
	.set _ZL29kerBlockLevelMemoryAllocationPii.num_agpr, max(0, .L__ockl_dm_alloc.num_agpr, .L__ockl_dm_dealloc.num_agpr)
	.set _ZL29kerBlockLevelMemoryAllocationPii.numbered_sgpr, max(51, .L__ockl_dm_alloc.numbered_sgpr, .L__ockl_dm_dealloc.numbered_sgpr)
	.set _ZL29kerBlockLevelMemoryAllocationPii.num_named_barrier, max(0, .L__ockl_dm_alloc.num_named_barrier, .L__ockl_dm_dealloc.num_named_barrier)
	.set _ZL29kerBlockLevelMemoryAllocationPii.private_seg_size, 0+max(.L__ockl_dm_alloc.private_seg_size, .L__ockl_dm_dealloc.private_seg_size)
	.set _ZL29kerBlockLevelMemoryAllocationPii.uses_vcc, or(1, .L__ockl_dm_alloc.uses_vcc, .L__ockl_dm_dealloc.uses_vcc)
	.set _ZL29kerBlockLevelMemoryAllocationPii.uses_flat_scratch, or(0, .L__ockl_dm_alloc.uses_flat_scratch, .L__ockl_dm_dealloc.uses_flat_scratch)
	.set _ZL29kerBlockLevelMemoryAllocationPii.has_dyn_sized_stack, or(0, .L__ockl_dm_alloc.has_dyn_sized_stack, .L__ockl_dm_dealloc.has_dyn_sized_stack)
	.set _ZL29kerBlockLevelMemoryAllocationPii.has_recursion, or(0, .L__ockl_dm_alloc.has_recursion, .L__ockl_dm_dealloc.has_recursion)
	.set _ZL29kerBlockLevelMemoryAllocationPii.has_indirect_call, or(0, .L__ockl_dm_alloc.has_indirect_call, .L__ockl_dm_dealloc.has_indirect_call)
	.section	.AMDGPU.csdata,"",@progbits
; Kernel info:
; codeLenInByte = 7468
; TotalNumSgprs: 64
; NumVgprs: 100
; ScratchSize: 0
; MemoryBound: 0
; FloatMode: 240
; IeeeMode: 1
; LDSByteSize: 0 bytes/workgroup (compile time only)
; SGPRBlocks: 0
; VGPRBlocks: 6
; NumSGPRsForWavesPerEU: 64
; NumVGPRsForWavesPerEU: 100
; NamedBarCnt: 0
; Occupancy: 9
; WaveLimiterHint : 1
; COMPUTE_PGM_RSRC2:SCRATCH_EN: 0
; COMPUTE_PGM_RSRC2:USER_SGPR: 2
; COMPUTE_PGM_RSRC2:TRAP_HANDLER: 0
; COMPUTE_PGM_RSRC2:TGID_X_EN: 1
; COMPUTE_PGM_RSRC2:TGID_Y_EN: 0
; COMPUTE_PGM_RSRC2:TGID_Z_EN: 0
; COMPUTE_PGM_RSRC2:TIDIG_COMP_CNT: 0
	.section	.text._ZL8kerAlloci,"axG",@progbits,_ZL8kerAlloci,comdat
	.globl	_ZL8kerAlloci                   ; -- Begin function _ZL8kerAlloci
	.p2align	8
	.type	_ZL8kerAlloci,@function
_ZL8kerAlloci:                          ; @_ZL8kerAlloci
; %bb.0:
	s_load_b32 s2, s[0:1], 0x14
	s_bfe_u32 s3, ttmp6, 0x4000c
	s_and_b32 s4, ttmp6, 15
	s_add_co_i32 s3, s3, 1
	s_getreg_b32 s5, hwreg(HW_REG_IB_STS2, 6, 4)
	s_mul_i32 s3, ttmp9, s3
	s_mov_b32 s32, 0
	s_add_co_i32 s4, s4, s3
	s_wait_kmcnt 0x0
	s_and_b32 s2, s2, 0xffff
	s_cmp_eq_u32 s5, 0
	s_cselect_b32 s3, ttmp9, s4
	s_delay_alu instid0(SALU_CYCLE_1) | instskip(NEXT) | instid1(SALU_CYCLE_1)
	s_mul_i32 s3, s3, s2
	s_sub_co_i32 s3, 0, s3
	s_delay_alu instid0(SALU_CYCLE_1)
	v_cmp_eq_u32_e32 vcc_lo, s3, v0
	s_mov_b32 s3, 0
	s_and_saveexec_b32 s4, vcc_lo
	s_cbranch_execz .LBB3_4
; %bb.1:
	s_add_nc_u64 s[8:9], s[0:1], 8
	s_load_b32 s4, s[8:9], 0x0
	s_load_b32 s5, s[0:1], 0x0
	s_wait_kmcnt 0x0
	s_mul_i32 s2, s4, s2
	s_delay_alu instid0(SALU_CYCLE_1)
	s_lshl_b64 s[34:35], s[2:3], 2
	s_cmp_lg_u32 s5, 1
	s_cbranch_scc1 .LBB3_5
; %bb.2:
                                        ; implicit-def: $vgpr0_vgpr1
	s_branch .LBB3_6
.LBB3_3:
	v_mov_b32_e32 v2, 0
	s_get_pc_i64 s[0:1]
	s_add_nc_u64 s[0:1], s[0:1], _ZL14dev_common_ptr@rel64+4
	global_store_b64 v2, v[0:1], s[0:1]
.LBB3_4:
	s_endpgm
.LBB3_5:
	v_max_u64 v[0:1], s[34:35], 1
	s_get_pc_i64 s[0:1]
	s_add_nc_u64 s[0:1], s[0:1], __ockl_dm_alloc@rel64+4
	s_delay_alu instid0(SALU_CYCLE_1)
	s_swap_pc_i64 s[30:31], s[0:1]
	s_cbranch_execnz .LBB3_3
.LBB3_6:
	v_dual_mov_b32 v0, s34 :: v_dual_mov_b32 v1, s35
	s_get_pc_i64 s[0:1]
	s_add_nc_u64 s[0:1], s[0:1], __ockl_dm_alloc@rel64+4
	s_delay_alu instid0(SALU_CYCLE_1)
	s_swap_pc_i64 s[30:31], s[0:1]
	s_branch .LBB3_3
	.section	.rodata,"a",@progbits
	.p2align	6, 0x0
	.amdhsa_kernel _ZL8kerAlloci
		.amdhsa_group_segment_fixed_size 0
		.amdhsa_private_segment_fixed_size 0
		.amdhsa_kernarg_size 264
		.amdhsa_user_sgpr_count 2
		.amdhsa_user_sgpr_dispatch_ptr 0
		.amdhsa_user_sgpr_queue_ptr 0
		.amdhsa_user_sgpr_kernarg_segment_ptr 1
		.amdhsa_user_sgpr_dispatch_id 0
		.amdhsa_user_sgpr_kernarg_preload_length 0
		.amdhsa_user_sgpr_kernarg_preload_offset 0
		.amdhsa_user_sgpr_private_segment_size 0
		.amdhsa_wavefront_size32 1
		.amdhsa_uses_dynamic_stack 0
		.amdhsa_enable_private_segment 0
		.amdhsa_system_sgpr_workgroup_id_x 1
		.amdhsa_system_sgpr_workgroup_id_y 0
		.amdhsa_system_sgpr_workgroup_id_z 0
		.amdhsa_system_sgpr_workgroup_info 0
		.amdhsa_system_vgpr_workitem_id 0
		.amdhsa_next_free_vgpr 100
		.amdhsa_next_free_sgpr 62
		.amdhsa_named_barrier_count 0
		.amdhsa_reserve_vcc 1
		.amdhsa_float_round_mode_32 0
		.amdhsa_float_round_mode_16_64 0
		.amdhsa_float_denorm_mode_32 3
		.amdhsa_float_denorm_mode_16_64 3
		.amdhsa_fp16_overflow 0
		.amdhsa_memory_ordered 1
		.amdhsa_forward_progress 1
		.amdhsa_inst_pref_size 2
		.amdhsa_round_robin_scheduling 0
		.amdhsa_exception_fp_ieee_invalid_op 0
		.amdhsa_exception_fp_denorm_src 0
		.amdhsa_exception_fp_ieee_div_zero 0
		.amdhsa_exception_fp_ieee_overflow 0
		.amdhsa_exception_fp_ieee_underflow 0
		.amdhsa_exception_fp_ieee_inexact 0
		.amdhsa_exception_int_div_zero 0
	.end_amdhsa_kernel
	.section	.text._ZL8kerAlloci,"axG",@progbits,_ZL8kerAlloci,comdat
.Lfunc_end3:
	.size	_ZL8kerAlloci, .Lfunc_end3-_ZL8kerAlloci
                                        ; -- End function
	.set _ZL8kerAlloci.num_vgpr, max(3, .L__ockl_dm_alloc.num_vgpr)
	.set _ZL8kerAlloci.num_agpr, max(0, .L__ockl_dm_alloc.num_agpr)
	.set _ZL8kerAlloci.numbered_sgpr, max(36, .L__ockl_dm_alloc.numbered_sgpr)
	.set _ZL8kerAlloci.num_named_barrier, max(0, .L__ockl_dm_alloc.num_named_barrier)
	.set _ZL8kerAlloci.private_seg_size, 0+max(.L__ockl_dm_alloc.private_seg_size)
	.set _ZL8kerAlloci.uses_vcc, or(1, .L__ockl_dm_alloc.uses_vcc)
	.set _ZL8kerAlloci.uses_flat_scratch, or(0, .L__ockl_dm_alloc.uses_flat_scratch)
	.set _ZL8kerAlloci.has_dyn_sized_stack, or(0, .L__ockl_dm_alloc.has_dyn_sized_stack)
	.set _ZL8kerAlloci.has_recursion, or(0, .L__ockl_dm_alloc.has_recursion)
	.set _ZL8kerAlloci.has_indirect_call, or(0, .L__ockl_dm_alloc.has_indirect_call)
	.section	.AMDGPU.csdata,"",@progbits
; Kernel info:
; codeLenInByte = 248
; TotalNumSgprs: 64
; NumVgprs: 100
; ScratchSize: 0
; MemoryBound: 0
; FloatMode: 240
; IeeeMode: 1
; LDSByteSize: 0 bytes/workgroup (compile time only)
; SGPRBlocks: 0
; VGPRBlocks: 6
; NumSGPRsForWavesPerEU: 64
; NumVGPRsForWavesPerEU: 100
; NamedBarCnt: 0
; Occupancy: 9
; WaveLimiterHint : 1
; COMPUTE_PGM_RSRC2:SCRATCH_EN: 0
; COMPUTE_PGM_RSRC2:USER_SGPR: 2
; COMPUTE_PGM_RSRC2:TRAP_HANDLER: 0
; COMPUTE_PGM_RSRC2:TGID_X_EN: 1
; COMPUTE_PGM_RSRC2:TGID_Y_EN: 0
; COMPUTE_PGM_RSRC2:TGID_Z_EN: 0
; COMPUTE_PGM_RSRC2:TIDIG_COMP_CNT: 0
	.text
	.globl	_ZL8kerWritev                   ; -- Begin function _ZL8kerWritev
	.p2align	8
	.type	_ZL8kerWritev,@function
_ZL8kerWritev:                          ; @_ZL8kerWritev
; %bb.0:
	s_get_pc_i64 s[2:3]
	s_add_nc_u64 s[2:3], s[2:3], _ZL14dev_common_ptr@rel64+4
	s_bfe_u32 s4, ttmp6, 0x4000c
	s_load_b64 s[2:3], s[2:3], 0x0
	s_add_co_i32 s4, s4, 1
	s_and_b32 s6, ttmp6, 15
	s_mul_i32 s4, ttmp9, s4
	s_getreg_b32 s7, hwreg(HW_REG_IB_STS2, 6, 4)
	s_and_b32 s5, s5, 0xffff
	s_add_co_i32 s6, s6, s4
	s_cmp_eq_u32 s7, 0
	s_cselect_b32 s4, ttmp9, s6
	s_delay_alu instid0(SALU_CYCLE_1)
	v_mad_u32 v29, s4, s5, v0
	s_mov_b32 s4, 0
	s_wait_kmcnt 0x0
	s_cmp_lg_u64 s[2:3], 0
	s_cbranch_scc0 .LBB4_2
; %bb.1:
	flat_store_b32 v29, v29, s[2:3] scale_offset
	s_and_not1_b32 vcc_lo, exec_lo, s4
	s_cbranch_vccz .LBB4_3
	s_branch .LBB4_162
.LBB4_2:
.LBB4_3:
	s_wait_xcnt 0x0
	s_load_b64 s[2:3], s[0:1], 0x50
	v_mbcnt_lo_u32_b32 v34, -1, 0
	v_mov_b64_e32 v[2:3], 0
	s_wait_xcnt 0x0
	s_delay_alu instid0(VALU_DEP_2) | instskip(NEXT) | instid1(VALU_DEP_1)
	v_readfirstlane_b32 s0, v34
	v_cmp_eq_u32_e64 s0, s0, v34
	s_and_saveexec_b32 s1, s0
	s_cbranch_execz .LBB4_9
; %bb.4:
	v_mov_b32_e32 v0, 0
	s_mov_b32 s4, exec_lo
	s_wait_kmcnt 0x0
	global_load_b64 v[4:5], v0, s[2:3] offset:24 scope:SCOPE_SYS
	s_wait_loadcnt 0x0
	global_inv scope:SCOPE_SYS
	s_clause 0x1
	global_load_b64 v[2:3], v0, s[2:3] offset:40
	global_load_b64 v[6:7], v0, s[2:3]
	s_wait_loadcnt 0x1
	v_and_b32_e32 v2, v2, v4
	v_and_b32_e32 v3, v3, v5
	s_delay_alu instid0(VALU_DEP_1) | instskip(SKIP_1) | instid1(VALU_DEP_1)
	v_mul_u64_e32 v[2:3], 24, v[2:3]
	s_wait_loadcnt 0x0
	v_add_nc_u64_e32 v[2:3], v[6:7], v[2:3]
	global_load_b64 v[2:3], v[2:3], off scope:SCOPE_SYS
	s_wait_xcnt 0x0
	s_wait_loadcnt 0x0
	global_atomic_cmpswap_b64 v[2:3], v0, v[2:5], s[2:3] offset:24 th:TH_ATOMIC_RETURN scope:SCOPE_SYS
	s_wait_loadcnt 0x0
	global_inv scope:SCOPE_SYS
	s_wait_xcnt 0x0
	v_cmpx_ne_u64_e64 v[2:3], v[4:5]
	s_cbranch_execz .LBB4_8
; %bb.5:
	s_mov_b32 s5, 0
.LBB4_6:                                ; =>This Inner Loop Header: Depth=1
	s_sleep 1
	s_clause 0x1
	global_load_b64 v[6:7], v0, s[2:3] offset:40
	global_load_b64 v[8:9], v0, s[2:3]
	v_mov_b64_e32 v[4:5], v[2:3]
	s_wait_loadcnt 0x1
	s_delay_alu instid0(VALU_DEP_1) | instskip(SKIP_1) | instid1(VALU_DEP_1)
	v_and_b32_e32 v1, v6, v4
	s_wait_loadcnt 0x0
	v_mad_nc_u64_u32 v[2:3], v1, 24, v[8:9]
	s_delay_alu instid0(VALU_DEP_3) | instskip(NEXT) | instid1(VALU_DEP_1)
	v_and_b32_e32 v1, v7, v5
	v_mad_u32 v3, v1, 24, v3
	global_load_b64 v[2:3], v[2:3], off scope:SCOPE_SYS
	s_wait_xcnt 0x0
	s_wait_loadcnt 0x0
	global_atomic_cmpswap_b64 v[2:3], v0, v[2:5], s[2:3] offset:24 th:TH_ATOMIC_RETURN scope:SCOPE_SYS
	s_wait_loadcnt 0x0
	global_inv scope:SCOPE_SYS
	v_cmp_eq_u64_e32 vcc_lo, v[2:3], v[4:5]
	s_or_b32 s5, vcc_lo, s5
	s_wait_xcnt 0x0
	s_and_not1_b32 exec_lo, exec_lo, s5
	s_cbranch_execnz .LBB4_6
; %bb.7:
	s_or_b32 exec_lo, exec_lo, s5
.LBB4_8:
	s_delay_alu instid0(SALU_CYCLE_1)
	s_or_b32 exec_lo, exec_lo, s4
.LBB4_9:
	s_delay_alu instid0(SALU_CYCLE_1)
	s_or_b32 exec_lo, exec_lo, s1
	v_readfirstlane_b32 s4, v2
	v_mov_b32_e32 v1, 0
	v_readfirstlane_b32 s5, v3
	s_mov_b32 s1, exec_lo
	s_wait_kmcnt 0x0
	s_clause 0x1
	global_load_b64 v[8:9], v1, s[2:3] offset:40
	global_load_b128 v[4:7], v1, s[2:3]
	s_wait_loadcnt 0x1
	v_and_b32_e32 v10, s4, v8
	v_and_b32_e32 v11, s5, v9
	s_delay_alu instid0(VALU_DEP_1) | instskip(SKIP_1) | instid1(VALU_DEP_1)
	v_mul_u64_e32 v[2:3], 24, v[10:11]
	s_wait_loadcnt 0x0
	v_add_nc_u64_e32 v[8:9], v[4:5], v[2:3]
	s_wait_xcnt 0x0
	s_and_saveexec_b32 s6, s0
	s_cbranch_execz .LBB4_11
; %bb.10:
	v_mov_b64_e32 v[2:3], 0x100000002
	v_mov_b32_e32 v0, s1
	global_store_b128 v[8:9], v[0:3], off offset:8
.LBB4_11:
	s_wait_xcnt 0x0
	s_or_b32 exec_lo, exec_lo, s6
	v_lshlrev_b64_e32 v[2:3], 12, v[10:11]
	s_mov_b32 s8, 0
	v_dual_lshlrev_b32 v0, 6, v34 :: v_dual_mov_b32 v10, 33
	s_mov_b32 s10, s8
	s_mov_b32 s11, s8
	;; [unrolled: 1-line block ×3, first 2 shown]
	s_delay_alu instid0(VALU_DEP_2)
	v_add_nc_u64_e32 v[6:7], v[6:7], v[2:3]
	v_mov_b64_e32 v[16:17], s[10:11]
	v_mov_b64_e32 v[14:15], s[8:9]
	v_dual_mov_b32 v11, v1 :: v_dual_mov_b32 v12, v1
	v_mov_b32_e32 v13, v1
	v_readfirstlane_b32 s6, v6
	v_readfirstlane_b32 s7, v7
	s_clause 0x3
	global_store_b128 v0, v[10:13], s[6:7]
	global_store_b128 v0, v[14:17], s[6:7] offset:16
	global_store_b128 v0, v[14:17], s[6:7] offset:32
	;; [unrolled: 1-line block ×3, first 2 shown]
	s_wait_xcnt 0x0
	s_and_saveexec_b32 s1, s0
	s_cbranch_execz .LBB4_19
; %bb.12:
	v_dual_mov_b32 v12, 0 :: v_dual_mov_b32 v15, s5
	s_mov_b32 s6, exec_lo
	s_clause 0x1
	global_load_b64 v[16:17], v12, s[2:3] offset:32 scope:SCOPE_SYS
	global_load_b64 v[2:3], v12, s[2:3] offset:40
	s_wait_loadcnt 0x0
	v_dual_mov_b32 v14, s4 :: v_dual_bitop2_b32 v3, s5, v3 bitop3:0x40
	v_and_b32_e32 v2, s4, v2
	s_delay_alu instid0(VALU_DEP_1) | instskip(NEXT) | instid1(VALU_DEP_1)
	v_mul_u64_e32 v[2:3], 24, v[2:3]
	v_add_nc_u64_e32 v[10:11], v[4:5], v[2:3]
	global_store_b64 v[10:11], v[16:17], off
	global_wb scope:SCOPE_SYS
	s_wait_storecnt 0x0
	s_wait_xcnt 0x0
	global_atomic_cmpswap_b64 v[4:5], v12, v[14:17], s[2:3] offset:32 th:TH_ATOMIC_RETURN scope:SCOPE_SYS
	s_wait_loadcnt 0x0
	v_cmpx_ne_u64_e64 v[4:5], v[16:17]
	s_cbranch_execz .LBB4_15
; %bb.13:
	s_mov_b32 s7, 0
.LBB4_14:                               ; =>This Inner Loop Header: Depth=1
	v_dual_mov_b32 v2, s4 :: v_dual_mov_b32 v3, s5
	s_sleep 1
	global_store_b64 v[10:11], v[4:5], off
	global_wb scope:SCOPE_SYS
	s_wait_storecnt 0x0
	s_wait_xcnt 0x0
	global_atomic_cmpswap_b64 v[2:3], v12, v[2:5], s[2:3] offset:32 th:TH_ATOMIC_RETURN scope:SCOPE_SYS
	s_wait_loadcnt 0x0
	v_cmp_eq_u64_e32 vcc_lo, v[2:3], v[4:5]
	v_mov_b64_e32 v[4:5], v[2:3]
	s_or_b32 s7, vcc_lo, s7
	s_delay_alu instid0(SALU_CYCLE_1)
	s_and_not1_b32 exec_lo, exec_lo, s7
	s_cbranch_execnz .LBB4_14
.LBB4_15:
	s_or_b32 exec_lo, exec_lo, s6
	v_mov_b32_e32 v5, 0
	s_mov_b32 s7, exec_lo
	s_mov_b32 s6, exec_lo
	v_mbcnt_lo_u32_b32 v4, s7, 0
	global_load_b64 v[2:3], v5, s[2:3] offset:16
	s_wait_xcnt 0x0
	v_cmpx_eq_u32_e32 0, v4
	s_cbranch_execz .LBB4_17
; %bb.16:
	s_bcnt1_i32_b32 s7, s7
	s_delay_alu instid0(SALU_CYCLE_1)
	v_mov_b32_e32 v4, s7
	global_wb scope:SCOPE_SYS
	s_wait_loadcnt 0x0
	s_wait_storecnt 0x0
	global_atomic_add_u64 v[2:3], v[4:5], off offset:8 scope:SCOPE_SYS
.LBB4_17:
	s_wait_xcnt 0x0
	s_or_b32 exec_lo, exec_lo, s6
	s_wait_loadcnt 0x0
	global_load_b64 v[4:5], v[2:3], off offset:16
	s_wait_loadcnt 0x0
	v_cmp_eq_u64_e32 vcc_lo, 0, v[4:5]
	s_cbranch_vccnz .LBB4_19
; %bb.18:
	global_load_b32 v2, v[2:3], off offset:24
	s_wait_xcnt 0x0
	v_mov_b32_e32 v3, 0
	s_wait_loadcnt 0x0
	v_readfirstlane_b32 s6, v2
	global_wb scope:SCOPE_SYS
	s_wait_storecnt 0x0
	global_store_b64 v[4:5], v[2:3], off scope:SCOPE_SYS
	s_and_b32 m0, s6, 0xffffff
	s_sendmsg sendmsg(MSG_INTERRUPT)
.LBB4_19:
	s_wait_xcnt 0x0
	s_or_b32 exec_lo, exec_lo, s1
	v_add_nc_u64_e32 v[2:3], v[6:7], v[0:1]
	s_branch .LBB4_23
.LBB4_20:                               ;   in Loop: Header=BB4_23 Depth=1
	s_wait_xcnt 0x0
	s_or_b32 exec_lo, exec_lo, s1
	s_delay_alu instid0(VALU_DEP_1)
	v_readfirstlane_b32 s1, v1
	s_cmp_eq_u32 s1, 0
	s_cbranch_scc1 .LBB4_22
; %bb.21:                               ;   in Loop: Header=BB4_23 Depth=1
	s_sleep 1
	s_cbranch_execnz .LBB4_23
	s_branch .LBB4_25
.LBB4_22:
	s_branch .LBB4_25
.LBB4_23:                               ; =>This Inner Loop Header: Depth=1
	v_mov_b32_e32 v1, 1
	s_and_saveexec_b32 s1, s0
	s_cbranch_execz .LBB4_20
; %bb.24:                               ;   in Loop: Header=BB4_23 Depth=1
	global_load_b32 v1, v[8:9], off offset:20 scope:SCOPE_SYS
	s_wait_loadcnt 0x0
	global_inv scope:SCOPE_SYS
	v_and_b32_e32 v1, 1, v1
	s_branch .LBB4_20
.LBB4_25:
	global_load_b64 v[2:3], v[2:3], off
	s_wait_xcnt 0x0
	s_and_saveexec_b32 s6, s0
	s_cbranch_execz .LBB4_29
; %bb.26:
	v_mov_b32_e32 v1, 0
	s_clause 0x2
	global_load_b64 v[4:5], v1, s[2:3] offset:40
	global_load_b64 v[12:13], v1, s[2:3] offset:24 scope:SCOPE_SYS
	global_load_b64 v[6:7], v1, s[2:3]
	s_wait_loadcnt 0x2
	v_readfirstlane_b32 s8, v4
	v_readfirstlane_b32 s9, v5
	s_add_nc_u64 s[0:1], s[8:9], 1
	s_delay_alu instid0(SALU_CYCLE_1) | instskip(NEXT) | instid1(SALU_CYCLE_1)
	s_add_nc_u64 s[4:5], s[0:1], s[4:5]
	s_cmp_eq_u64 s[4:5], 0
	s_cselect_b32 s1, s1, s5
	s_cselect_b32 s0, s0, s4
	v_mov_b32_e32 v11, s1
	s_and_b64 s[4:5], s[0:1], s[8:9]
	v_mov_b32_e32 v10, s0
	s_mul_u64 s[4:5], s[4:5], 24
	s_wait_loadcnt 0x0
	v_add_nc_u64_e32 v[8:9], s[4:5], v[6:7]
	global_store_b64 v[8:9], v[12:13], off
	global_wb scope:SCOPE_SYS
	s_wait_storecnt 0x0
	s_wait_xcnt 0x0
	global_atomic_cmpswap_b64 v[6:7], v1, v[10:13], s[2:3] offset:24 th:TH_ATOMIC_RETURN scope:SCOPE_SYS
	s_wait_loadcnt 0x0
	v_cmp_ne_u64_e32 vcc_lo, v[6:7], v[12:13]
	s_and_b32 exec_lo, exec_lo, vcc_lo
	s_cbranch_execz .LBB4_29
; %bb.27:
	s_mov_b32 s4, 0
.LBB4_28:                               ; =>This Inner Loop Header: Depth=1
	v_dual_mov_b32 v4, s0 :: v_dual_mov_b32 v5, s1
	s_sleep 1
	global_store_b64 v[8:9], v[6:7], off
	global_wb scope:SCOPE_SYS
	s_wait_storecnt 0x0
	s_wait_xcnt 0x0
	global_atomic_cmpswap_b64 v[4:5], v1, v[4:7], s[2:3] offset:24 th:TH_ATOMIC_RETURN scope:SCOPE_SYS
	s_wait_loadcnt 0x0
	v_cmp_eq_u64_e32 vcc_lo, v[4:5], v[6:7]
	v_mov_b64_e32 v[6:7], v[4:5]
	s_or_b32 s4, vcc_lo, s4
	s_delay_alu instid0(SALU_CYCLE_1)
	s_and_not1_b32 exec_lo, exec_lo, s4
	s_cbranch_execnz .LBB4_28
.LBB4_29:
	s_or_b32 exec_lo, exec_lo, s6
	s_get_pc_i64 s[4:5]
	s_add_nc_u64 s[4:5], s[4:5], .str@rel64+4
	s_delay_alu instid0(SALU_CYCLE_1)
	s_cmp_lg_u64 s[4:5], 0
	s_cbranch_scc0 .LBB4_108
; %bb.30:
	v_mov_b64_e32 v[10:11], 0x100000002
	s_wait_loadcnt 0x0
	v_dual_mov_b32 v9, 0 :: v_dual_bitop2_b32 v28, 2, v2 bitop3:0x40
	v_dual_mov_b32 v5, v3 :: v_dual_bitop2_b32 v4, -3, v2 bitop3:0x40
	s_mov_b64 s[6:7], 42
	s_branch .LBB4_32
.LBB4_31:                               ;   in Loop: Header=BB4_32 Depth=1
	s_or_b32 exec_lo, exec_lo, s12
	s_sub_nc_u64 s[6:7], s[6:7], s[8:9]
	s_add_nc_u64 s[4:5], s[4:5], s[8:9]
	s_cmp_lg_u64 s[6:7], 0
	s_cbranch_scc0 .LBB4_107
.LBB4_32:                               ; =>This Loop Header: Depth=1
                                        ;     Child Loop BB4_35 Depth 2
                                        ;     Child Loop BB4_42 Depth 2
	;; [unrolled: 1-line block ×11, first 2 shown]
	v_min_u64 v[6:7], s[6:7], 56
	v_cmp_gt_u64_e64 s0, s[6:7], 7
	s_and_b32 vcc_lo, exec_lo, s0
	v_readfirstlane_b32 s8, v6
	v_readfirstlane_b32 s9, v7
	s_cbranch_vccnz .LBB4_37
; %bb.33:                               ;   in Loop: Header=BB4_32 Depth=1
	v_mov_b64_e32 v[6:7], 0
	s_cmp_eq_u64 s[6:7], 0
	s_cbranch_scc1 .LBB4_36
; %bb.34:                               ;   in Loop: Header=BB4_32 Depth=1
	s_mov_b64 s[0:1], 0
	s_mov_b64 s[10:11], 0
.LBB4_35:                               ;   Parent Loop BB4_32 Depth=1
                                        ; =>  This Inner Loop Header: Depth=2
	s_wait_xcnt 0x0
	s_add_nc_u64 s[12:13], s[4:5], s[10:11]
	s_add_nc_u64 s[10:11], s[10:11], 1
	global_load_u8 v1, v9, s[12:13]
	s_cmp_lg_u32 s8, s10
	s_wait_loadcnt 0x0
	v_and_b32_e32 v8, 0xffff, v1
	s_delay_alu instid0(VALU_DEP_1) | instskip(SKIP_1) | instid1(VALU_DEP_1)
	v_lshlrev_b64_e32 v[12:13], s0, v[8:9]
	s_add_nc_u64 s[0:1], s[0:1], 8
	v_or_b32_e32 v6, v12, v6
	s_delay_alu instid0(VALU_DEP_2)
	v_or_b32_e32 v7, v13, v7
	s_cbranch_scc1 .LBB4_35
.LBB4_36:                               ;   in Loop: Header=BB4_32 Depth=1
	s_mov_b64 s[10:11], s[4:5]
	s_mov_b32 s14, 0
	s_cbranch_execz .LBB4_38
	s_branch .LBB4_39
.LBB4_37:                               ;   in Loop: Header=BB4_32 Depth=1
	s_add_nc_u64 s[10:11], s[4:5], 8
	s_mov_b32 s14, 0
.LBB4_38:                               ;   in Loop: Header=BB4_32 Depth=1
	global_load_b64 v[6:7], v9, s[4:5]
	s_add_co_i32 s14, s8, -8
.LBB4_39:                               ;   in Loop: Header=BB4_32 Depth=1
	s_delay_alu instid0(SALU_CYCLE_1)
	s_cmp_gt_u32 s14, 7
	s_cbranch_scc1 .LBB4_44
; %bb.40:                               ;   in Loop: Header=BB4_32 Depth=1
	v_mov_b64_e32 v[12:13], 0
	s_cmp_eq_u32 s14, 0
	s_cbranch_scc1 .LBB4_43
; %bb.41:                               ;   in Loop: Header=BB4_32 Depth=1
	s_mov_b64 s[0:1], 0
	s_wait_xcnt 0x0
	s_mov_b64 s[12:13], 0
.LBB4_42:                               ;   Parent Loop BB4_32 Depth=1
                                        ; =>  This Inner Loop Header: Depth=2
	s_wait_xcnt 0x0
	s_add_nc_u64 s[16:17], s[10:11], s[12:13]
	s_add_nc_u64 s[12:13], s[12:13], 1
	global_load_u8 v1, v9, s[16:17]
	s_cmp_lg_u32 s14, s12
	s_wait_loadcnt 0x0
	v_and_b32_e32 v8, 0xffff, v1
	s_delay_alu instid0(VALU_DEP_1) | instskip(SKIP_1) | instid1(VALU_DEP_1)
	v_lshlrev_b64_e32 v[14:15], s0, v[8:9]
	s_add_nc_u64 s[0:1], s[0:1], 8
	v_or_b32_e32 v12, v14, v12
	s_delay_alu instid0(VALU_DEP_2)
	v_or_b32_e32 v13, v15, v13
	s_cbranch_scc1 .LBB4_42
.LBB4_43:                               ;   in Loop: Header=BB4_32 Depth=1
	s_wait_xcnt 0x0
	s_mov_b64 s[0:1], s[10:11]
	s_mov_b32 s15, 0
	s_cbranch_execz .LBB4_45
	s_branch .LBB4_46
.LBB4_44:                               ;   in Loop: Header=BB4_32 Depth=1
	s_add_nc_u64 s[0:1], s[10:11], 8
	s_wait_xcnt 0x0
                                        ; implicit-def: $vgpr12_vgpr13
	s_mov_b32 s15, 0
.LBB4_45:                               ;   in Loop: Header=BB4_32 Depth=1
	global_load_b64 v[12:13], v9, s[10:11]
	s_add_co_i32 s15, s14, -8
.LBB4_46:                               ;   in Loop: Header=BB4_32 Depth=1
	s_delay_alu instid0(SALU_CYCLE_1)
	s_cmp_gt_u32 s15, 7
	s_cbranch_scc1 .LBB4_51
; %bb.47:                               ;   in Loop: Header=BB4_32 Depth=1
	v_mov_b64_e32 v[14:15], 0
	s_cmp_eq_u32 s15, 0
	s_cbranch_scc1 .LBB4_50
; %bb.48:                               ;   in Loop: Header=BB4_32 Depth=1
	s_wait_xcnt 0x0
	s_mov_b64 s[10:11], 0
	s_mov_b64 s[12:13], 0
.LBB4_49:                               ;   Parent Loop BB4_32 Depth=1
                                        ; =>  This Inner Loop Header: Depth=2
	s_wait_xcnt 0x0
	s_add_nc_u64 s[16:17], s[0:1], s[12:13]
	s_add_nc_u64 s[12:13], s[12:13], 1
	global_load_u8 v1, v9, s[16:17]
	s_cmp_lg_u32 s15, s12
	s_wait_loadcnt 0x0
	v_and_b32_e32 v8, 0xffff, v1
	s_delay_alu instid0(VALU_DEP_1) | instskip(SKIP_1) | instid1(VALU_DEP_1)
	v_lshlrev_b64_e32 v[16:17], s10, v[8:9]
	s_add_nc_u64 s[10:11], s[10:11], 8
	v_or_b32_e32 v14, v16, v14
	s_delay_alu instid0(VALU_DEP_2)
	v_or_b32_e32 v15, v17, v15
	s_cbranch_scc1 .LBB4_49
.LBB4_50:                               ;   in Loop: Header=BB4_32 Depth=1
	s_wait_xcnt 0x0
	s_mov_b64 s[10:11], s[0:1]
	s_mov_b32 s14, 0
	s_cbranch_execz .LBB4_52
	s_branch .LBB4_53
.LBB4_51:                               ;   in Loop: Header=BB4_32 Depth=1
	s_wait_xcnt 0x0
	s_add_nc_u64 s[10:11], s[0:1], 8
	s_mov_b32 s14, 0
.LBB4_52:                               ;   in Loop: Header=BB4_32 Depth=1
	global_load_b64 v[14:15], v9, s[0:1]
	s_add_co_i32 s14, s15, -8
.LBB4_53:                               ;   in Loop: Header=BB4_32 Depth=1
	s_delay_alu instid0(SALU_CYCLE_1)
	s_cmp_gt_u32 s14, 7
	s_cbranch_scc1 .LBB4_58
; %bb.54:                               ;   in Loop: Header=BB4_32 Depth=1
	v_mov_b64_e32 v[16:17], 0
	s_cmp_eq_u32 s14, 0
	s_cbranch_scc1 .LBB4_57
; %bb.55:                               ;   in Loop: Header=BB4_32 Depth=1
	s_wait_xcnt 0x0
	s_mov_b64 s[0:1], 0
	s_mov_b64 s[12:13], 0
.LBB4_56:                               ;   Parent Loop BB4_32 Depth=1
                                        ; =>  This Inner Loop Header: Depth=2
	s_wait_xcnt 0x0
	s_add_nc_u64 s[16:17], s[10:11], s[12:13]
	s_add_nc_u64 s[12:13], s[12:13], 1
	global_load_u8 v1, v9, s[16:17]
	s_cmp_lg_u32 s14, s12
	s_wait_loadcnt 0x0
	v_and_b32_e32 v8, 0xffff, v1
	s_delay_alu instid0(VALU_DEP_1) | instskip(SKIP_1) | instid1(VALU_DEP_1)
	v_lshlrev_b64_e32 v[18:19], s0, v[8:9]
	s_add_nc_u64 s[0:1], s[0:1], 8
	v_or_b32_e32 v16, v18, v16
	s_delay_alu instid0(VALU_DEP_2)
	v_or_b32_e32 v17, v19, v17
	s_cbranch_scc1 .LBB4_56
.LBB4_57:                               ;   in Loop: Header=BB4_32 Depth=1
	s_wait_xcnt 0x0
	s_mov_b64 s[0:1], s[10:11]
	s_mov_b32 s15, 0
	s_cbranch_execz .LBB4_59
	s_branch .LBB4_60
.LBB4_58:                               ;   in Loop: Header=BB4_32 Depth=1
	s_wait_xcnt 0x0
	s_add_nc_u64 s[0:1], s[10:11], 8
                                        ; implicit-def: $vgpr16_vgpr17
	s_mov_b32 s15, 0
.LBB4_59:                               ;   in Loop: Header=BB4_32 Depth=1
	global_load_b64 v[16:17], v9, s[10:11]
	s_add_co_i32 s15, s14, -8
.LBB4_60:                               ;   in Loop: Header=BB4_32 Depth=1
	s_delay_alu instid0(SALU_CYCLE_1)
	s_cmp_gt_u32 s15, 7
	s_cbranch_scc1 .LBB4_65
; %bb.61:                               ;   in Loop: Header=BB4_32 Depth=1
	v_mov_b64_e32 v[18:19], 0
	s_cmp_eq_u32 s15, 0
	s_cbranch_scc1 .LBB4_64
; %bb.62:                               ;   in Loop: Header=BB4_32 Depth=1
	s_wait_xcnt 0x0
	s_mov_b64 s[10:11], 0
	s_mov_b64 s[12:13], 0
.LBB4_63:                               ;   Parent Loop BB4_32 Depth=1
                                        ; =>  This Inner Loop Header: Depth=2
	s_wait_xcnt 0x0
	s_add_nc_u64 s[16:17], s[0:1], s[12:13]
	s_add_nc_u64 s[12:13], s[12:13], 1
	global_load_u8 v1, v9, s[16:17]
	s_cmp_lg_u32 s15, s12
	s_wait_loadcnt 0x0
	v_and_b32_e32 v8, 0xffff, v1
	s_delay_alu instid0(VALU_DEP_1) | instskip(SKIP_1) | instid1(VALU_DEP_1)
	v_lshlrev_b64_e32 v[20:21], s10, v[8:9]
	s_add_nc_u64 s[10:11], s[10:11], 8
	v_or_b32_e32 v18, v20, v18
	s_delay_alu instid0(VALU_DEP_2)
	v_or_b32_e32 v19, v21, v19
	s_cbranch_scc1 .LBB4_63
.LBB4_64:                               ;   in Loop: Header=BB4_32 Depth=1
	s_wait_xcnt 0x0
	s_mov_b64 s[10:11], s[0:1]
	s_mov_b32 s14, 0
	s_cbranch_execz .LBB4_66
	s_branch .LBB4_67
.LBB4_65:                               ;   in Loop: Header=BB4_32 Depth=1
	s_wait_xcnt 0x0
	s_add_nc_u64 s[10:11], s[0:1], 8
	s_mov_b32 s14, 0
.LBB4_66:                               ;   in Loop: Header=BB4_32 Depth=1
	global_load_b64 v[18:19], v9, s[0:1]
	s_add_co_i32 s14, s15, -8
.LBB4_67:                               ;   in Loop: Header=BB4_32 Depth=1
	s_delay_alu instid0(SALU_CYCLE_1)
	s_cmp_gt_u32 s14, 7
	s_cbranch_scc1 .LBB4_72
; %bb.68:                               ;   in Loop: Header=BB4_32 Depth=1
	v_mov_b64_e32 v[20:21], 0
	s_cmp_eq_u32 s14, 0
	s_cbranch_scc1 .LBB4_71
; %bb.69:                               ;   in Loop: Header=BB4_32 Depth=1
	s_wait_xcnt 0x0
	s_mov_b64 s[0:1], 0
	s_mov_b64 s[12:13], 0
.LBB4_70:                               ;   Parent Loop BB4_32 Depth=1
                                        ; =>  This Inner Loop Header: Depth=2
	s_wait_xcnt 0x0
	s_add_nc_u64 s[16:17], s[10:11], s[12:13]
	s_add_nc_u64 s[12:13], s[12:13], 1
	global_load_u8 v1, v9, s[16:17]
	s_cmp_lg_u32 s14, s12
	s_wait_loadcnt 0x0
	v_and_b32_e32 v8, 0xffff, v1
	s_delay_alu instid0(VALU_DEP_1) | instskip(SKIP_1) | instid1(VALU_DEP_1)
	v_lshlrev_b64_e32 v[22:23], s0, v[8:9]
	s_add_nc_u64 s[0:1], s[0:1], 8
	v_or_b32_e32 v20, v22, v20
	s_delay_alu instid0(VALU_DEP_2)
	v_or_b32_e32 v21, v23, v21
	s_cbranch_scc1 .LBB4_70
.LBB4_71:                               ;   in Loop: Header=BB4_32 Depth=1
	s_wait_xcnt 0x0
	s_mov_b64 s[0:1], s[10:11]
	s_mov_b32 s15, 0
	s_cbranch_execz .LBB4_73
	s_branch .LBB4_74
.LBB4_72:                               ;   in Loop: Header=BB4_32 Depth=1
	s_wait_xcnt 0x0
	s_add_nc_u64 s[0:1], s[10:11], 8
                                        ; implicit-def: $vgpr20_vgpr21
	s_mov_b32 s15, 0
.LBB4_73:                               ;   in Loop: Header=BB4_32 Depth=1
	global_load_b64 v[20:21], v9, s[10:11]
	s_add_co_i32 s15, s14, -8
.LBB4_74:                               ;   in Loop: Header=BB4_32 Depth=1
	s_delay_alu instid0(SALU_CYCLE_1)
	s_cmp_gt_u32 s15, 7
	s_cbranch_scc1 .LBB4_79
; %bb.75:                               ;   in Loop: Header=BB4_32 Depth=1
	v_mov_b64_e32 v[22:23], 0
	s_cmp_eq_u32 s15, 0
	s_cbranch_scc1 .LBB4_78
; %bb.76:                               ;   in Loop: Header=BB4_32 Depth=1
	s_wait_xcnt 0x0
	s_mov_b64 s[10:11], 0
	s_mov_b64 s[12:13], s[0:1]
.LBB4_77:                               ;   Parent Loop BB4_32 Depth=1
                                        ; =>  This Inner Loop Header: Depth=2
	global_load_u8 v1, v9, s[12:13]
	s_add_co_i32 s15, s15, -1
	s_wait_xcnt 0x0
	s_add_nc_u64 s[12:13], s[12:13], 1
	s_cmp_lg_u32 s15, 0
	s_wait_loadcnt 0x0
	v_and_b32_e32 v8, 0xffff, v1
	s_delay_alu instid0(VALU_DEP_1) | instskip(SKIP_1) | instid1(VALU_DEP_1)
	v_lshlrev_b64_e32 v[24:25], s10, v[8:9]
	s_add_nc_u64 s[10:11], s[10:11], 8
	v_or_b32_e32 v22, v24, v22
	s_delay_alu instid0(VALU_DEP_2)
	v_or_b32_e32 v23, v25, v23
	s_cbranch_scc1 .LBB4_77
.LBB4_78:                               ;   in Loop: Header=BB4_32 Depth=1
	s_wait_xcnt 0x0
	s_cbranch_execz .LBB4_80
	s_branch .LBB4_81
.LBB4_79:                               ;   in Loop: Header=BB4_32 Depth=1
	s_wait_xcnt 0x0
.LBB4_80:                               ;   in Loop: Header=BB4_32 Depth=1
	global_load_b64 v[22:23], v9, s[0:1]
.LBB4_81:                               ;   in Loop: Header=BB4_32 Depth=1
	s_wait_xcnt 0x0
	v_readfirstlane_b32 s0, v34
	v_mov_b64_e32 v[30:31], 0
	s_delay_alu instid0(VALU_DEP_2)
	v_cmp_eq_u32_e64 s0, s0, v34
	s_and_saveexec_b32 s1, s0
	s_cbranch_execz .LBB4_87
; %bb.82:                               ;   in Loop: Header=BB4_32 Depth=1
	global_load_b64 v[26:27], v9, s[2:3] offset:24 scope:SCOPE_SYS
	s_wait_loadcnt 0x0
	global_inv scope:SCOPE_SYS
	s_clause 0x1
	global_load_b64 v[24:25], v9, s[2:3] offset:40
	global_load_b64 v[30:31], v9, s[2:3]
	s_mov_b32 s10, exec_lo
	s_wait_loadcnt 0x1
	v_and_b32_e32 v24, v24, v26
	v_and_b32_e32 v25, v25, v27
	s_delay_alu instid0(VALU_DEP_1) | instskip(SKIP_1) | instid1(VALU_DEP_1)
	v_mul_u64_e32 v[24:25], 24, v[24:25]
	s_wait_loadcnt 0x0
	v_add_nc_u64_e32 v[24:25], v[30:31], v[24:25]
	global_load_b64 v[24:25], v[24:25], off scope:SCOPE_SYS
	s_wait_xcnt 0x0
	s_wait_loadcnt 0x0
	global_atomic_cmpswap_b64 v[30:31], v9, v[24:27], s[2:3] offset:24 th:TH_ATOMIC_RETURN scope:SCOPE_SYS
	s_wait_loadcnt 0x0
	global_inv scope:SCOPE_SYS
	s_wait_xcnt 0x0
	v_cmpx_ne_u64_e64 v[30:31], v[26:27]
	s_cbranch_execz .LBB4_86
; %bb.83:                               ;   in Loop: Header=BB4_32 Depth=1
	s_mov_b32 s11, 0
.LBB4_84:                               ;   Parent Loop BB4_32 Depth=1
                                        ; =>  This Inner Loop Header: Depth=2
	s_sleep 1
	s_clause 0x1
	global_load_b64 v[24:25], v9, s[2:3] offset:40
	global_load_b64 v[32:33], v9, s[2:3]
	v_mov_b64_e32 v[26:27], v[30:31]
	s_wait_loadcnt 0x1
	s_delay_alu instid0(VALU_DEP_1) | instskip(SKIP_1) | instid1(VALU_DEP_1)
	v_and_b32_e32 v1, v24, v26
	s_wait_loadcnt 0x0
	v_mad_nc_u64_u32 v[30:31], v1, 24, v[32:33]
	s_delay_alu instid0(VALU_DEP_3) | instskip(NEXT) | instid1(VALU_DEP_1)
	v_and_b32_e32 v1, v25, v27
	v_mad_u32 v31, v1, 24, v31
	global_load_b64 v[24:25], v[30:31], off scope:SCOPE_SYS
	s_wait_xcnt 0x0
	s_wait_loadcnt 0x0
	global_atomic_cmpswap_b64 v[30:31], v9, v[24:27], s[2:3] offset:24 th:TH_ATOMIC_RETURN scope:SCOPE_SYS
	s_wait_loadcnt 0x0
	global_inv scope:SCOPE_SYS
	v_cmp_eq_u64_e32 vcc_lo, v[30:31], v[26:27]
	s_or_b32 s11, vcc_lo, s11
	s_wait_xcnt 0x0
	s_and_not1_b32 exec_lo, exec_lo, s11
	s_cbranch_execnz .LBB4_84
; %bb.85:                               ;   in Loop: Header=BB4_32 Depth=1
	s_or_b32 exec_lo, exec_lo, s11
.LBB4_86:                               ;   in Loop: Header=BB4_32 Depth=1
	s_delay_alu instid0(SALU_CYCLE_1)
	s_or_b32 exec_lo, exec_lo, s10
.LBB4_87:                               ;   in Loop: Header=BB4_32 Depth=1
	s_delay_alu instid0(SALU_CYCLE_1)
	s_or_b32 exec_lo, exec_lo, s1
	s_clause 0x1
	global_load_b64 v[32:33], v9, s[2:3] offset:40
	global_load_b128 v[24:27], v9, s[2:3]
	v_readfirstlane_b32 s10, v30
	v_readfirstlane_b32 s11, v31
	s_mov_b32 s1, exec_lo
	s_wait_loadcnt 0x1
	v_and_b32_e32 v32, s10, v32
	v_and_b32_e32 v33, s11, v33
	s_delay_alu instid0(VALU_DEP_1) | instskip(SKIP_1) | instid1(VALU_DEP_1)
	v_mul_u64_e32 v[30:31], 24, v[32:33]
	s_wait_loadcnt 0x0
	v_add_nc_u64_e32 v[30:31], v[24:25], v[30:31]
	s_wait_xcnt 0x0
	s_and_saveexec_b32 s12, s0
	s_cbranch_execz .LBB4_89
; %bb.88:                               ;   in Loop: Header=BB4_32 Depth=1
	v_mov_b32_e32 v8, s1
	global_store_b128 v[30:31], v[8:11], off offset:8
.LBB4_89:                               ;   in Loop: Header=BB4_32 Depth=1
	s_wait_xcnt 0x0
	s_or_b32 exec_lo, exec_lo, s12
	v_cmp_lt_u64_e64 vcc_lo, s[6:7], 57
	v_lshlrev_b64_e32 v[32:33], 12, v[32:33]
	v_and_b32_e32 v4, 0xffffff1f, v4
	s_lshl_b32 s1, s8, 2
	s_delay_alu instid0(SALU_CYCLE_1) | instskip(SKIP_1) | instid1(VALU_DEP_3)
	s_add_co_i32 s1, s1, 28
	v_cndmask_b32_e32 v1, 0, v28, vcc_lo
	v_add_nc_u64_e32 v[26:27], v[26:27], v[32:33]
	s_delay_alu instid0(VALU_DEP_2) | instskip(NEXT) | instid1(VALU_DEP_2)
	v_or_b32_e32 v1, v4, v1
	v_readfirstlane_b32 s12, v26
	s_delay_alu instid0(VALU_DEP_3) | instskip(NEXT) | instid1(VALU_DEP_3)
	v_readfirstlane_b32 s13, v27
	v_and_or_b32 v4, 0x1e0, s1, v1
	s_clause 0x3
	global_store_b128 v0, v[4:7], s[12:13]
	global_store_b128 v0, v[12:15], s[12:13] offset:16
	global_store_b128 v0, v[16:19], s[12:13] offset:32
	global_store_b128 v0, v[20:23], s[12:13] offset:48
	s_wait_xcnt 0x0
	s_and_saveexec_b32 s1, s0
	s_cbranch_execz .LBB4_97
; %bb.90:                               ;   in Loop: Header=BB4_32 Depth=1
	s_clause 0x1
	global_load_b64 v[16:17], v9, s[2:3] offset:32 scope:SCOPE_SYS
	global_load_b64 v[4:5], v9, s[2:3] offset:40
	s_mov_b32 s12, exec_lo
	v_dual_mov_b32 v14, s10 :: v_dual_mov_b32 v15, s11
	s_wait_loadcnt 0x0
	v_and_b32_e32 v5, s11, v5
	v_and_b32_e32 v4, s10, v4
	s_delay_alu instid0(VALU_DEP_1) | instskip(NEXT) | instid1(VALU_DEP_1)
	v_mul_u64_e32 v[4:5], 24, v[4:5]
	v_add_nc_u64_e32 v[12:13], v[24:25], v[4:5]
	global_store_b64 v[12:13], v[16:17], off
	global_wb scope:SCOPE_SYS
	s_wait_storecnt 0x0
	s_wait_xcnt 0x0
	global_atomic_cmpswap_b64 v[6:7], v9, v[14:17], s[2:3] offset:32 th:TH_ATOMIC_RETURN scope:SCOPE_SYS
	s_wait_loadcnt 0x0
	v_cmpx_ne_u64_e64 v[6:7], v[16:17]
	s_cbranch_execz .LBB4_93
; %bb.91:                               ;   in Loop: Header=BB4_32 Depth=1
	s_mov_b32 s13, 0
.LBB4_92:                               ;   Parent Loop BB4_32 Depth=1
                                        ; =>  This Inner Loop Header: Depth=2
	v_dual_mov_b32 v4, s10 :: v_dual_mov_b32 v5, s11
	s_sleep 1
	global_store_b64 v[12:13], v[6:7], off
	global_wb scope:SCOPE_SYS
	s_wait_storecnt 0x0
	s_wait_xcnt 0x0
	global_atomic_cmpswap_b64 v[4:5], v9, v[4:7], s[2:3] offset:32 th:TH_ATOMIC_RETURN scope:SCOPE_SYS
	s_wait_loadcnt 0x0
	v_cmp_eq_u64_e32 vcc_lo, v[4:5], v[6:7]
	v_mov_b64_e32 v[6:7], v[4:5]
	s_or_b32 s13, vcc_lo, s13
	s_delay_alu instid0(SALU_CYCLE_1)
	s_and_not1_b32 exec_lo, exec_lo, s13
	s_cbranch_execnz .LBB4_92
.LBB4_93:                               ;   in Loop: Header=BB4_32 Depth=1
	s_or_b32 exec_lo, exec_lo, s12
	global_load_b64 v[4:5], v9, s[2:3] offset:16
	s_mov_b32 s13, exec_lo
	s_mov_b32 s12, exec_lo
	v_mbcnt_lo_u32_b32 v1, s13, 0
	s_wait_xcnt 0x0
	s_delay_alu instid0(VALU_DEP_1)
	v_cmpx_eq_u32_e32 0, v1
	s_cbranch_execz .LBB4_95
; %bb.94:                               ;   in Loop: Header=BB4_32 Depth=1
	s_bcnt1_i32_b32 s13, s13
	s_delay_alu instid0(SALU_CYCLE_1)
	v_mov_b32_e32 v8, s13
	global_wb scope:SCOPE_SYS
	s_wait_loadcnt 0x0
	s_wait_storecnt 0x0
	global_atomic_add_u64 v[4:5], v[8:9], off offset:8 scope:SCOPE_SYS
.LBB4_95:                               ;   in Loop: Header=BB4_32 Depth=1
	s_wait_xcnt 0x0
	s_or_b32 exec_lo, exec_lo, s12
	s_wait_loadcnt 0x0
	global_load_b64 v[6:7], v[4:5], off offset:16
	s_wait_loadcnt 0x0
	v_cmp_eq_u64_e32 vcc_lo, 0, v[6:7]
	s_cbranch_vccnz .LBB4_97
; %bb.96:                               ;   in Loop: Header=BB4_32 Depth=1
	global_load_b32 v8, v[4:5], off offset:24
	s_wait_loadcnt 0x0
	v_readfirstlane_b32 s12, v8
	global_wb scope:SCOPE_SYS
	s_wait_storecnt 0x0
	s_wait_xcnt 0x0
	global_store_b64 v[6:7], v[8:9], off scope:SCOPE_SYS
	s_and_b32 m0, s12, 0xffffff
	s_sendmsg sendmsg(MSG_INTERRUPT)
.LBB4_97:                               ;   in Loop: Header=BB4_32 Depth=1
	s_wait_xcnt 0x0
	s_or_b32 exec_lo, exec_lo, s1
	v_mov_b32_e32 v1, v9
	s_delay_alu instid0(VALU_DEP_1)
	v_add_nc_u64_e32 v[4:5], v[26:27], v[0:1]
	s_branch .LBB4_101
.LBB4_98:                               ;   in Loop: Header=BB4_101 Depth=2
	s_wait_xcnt 0x0
	s_or_b32 exec_lo, exec_lo, s1
	s_delay_alu instid0(VALU_DEP_1)
	v_readfirstlane_b32 s1, v1
	s_cmp_eq_u32 s1, 0
	s_cbranch_scc1 .LBB4_100
; %bb.99:                               ;   in Loop: Header=BB4_101 Depth=2
	s_sleep 1
	s_cbranch_execnz .LBB4_101
	s_branch .LBB4_103
.LBB4_100:                              ;   in Loop: Header=BB4_32 Depth=1
	s_branch .LBB4_103
.LBB4_101:                              ;   Parent Loop BB4_32 Depth=1
                                        ; =>  This Inner Loop Header: Depth=2
	v_mov_b32_e32 v1, 1
	s_and_saveexec_b32 s1, s0
	s_cbranch_execz .LBB4_98
; %bb.102:                              ;   in Loop: Header=BB4_101 Depth=2
	global_load_b32 v1, v[30:31], off offset:20 scope:SCOPE_SYS
	s_wait_loadcnt 0x0
	global_inv scope:SCOPE_SYS
	v_and_b32_e32 v1, 1, v1
	s_branch .LBB4_98
.LBB4_103:                              ;   in Loop: Header=BB4_32 Depth=1
	global_load_b64 v[4:5], v[4:5], off
	s_wait_xcnt 0x0
	s_and_saveexec_b32 s12, s0
	s_cbranch_execz .LBB4_31
; %bb.104:                              ;   in Loop: Header=BB4_32 Depth=1
	s_clause 0x2
	global_load_b64 v[6:7], v9, s[2:3] offset:40
	global_load_b64 v[16:17], v9, s[2:3] offset:24 scope:SCOPE_SYS
	global_load_b64 v[12:13], v9, s[2:3]
	s_wait_loadcnt 0x2
	v_readfirstlane_b32 s14, v6
	v_readfirstlane_b32 s15, v7
	s_add_nc_u64 s[0:1], s[14:15], 1
	s_delay_alu instid0(SALU_CYCLE_1) | instskip(NEXT) | instid1(SALU_CYCLE_1)
	s_add_nc_u64 s[10:11], s[0:1], s[10:11]
	s_cmp_eq_u64 s[10:11], 0
	s_cselect_b32 s1, s1, s11
	s_cselect_b32 s0, s0, s10
	s_delay_alu instid0(SALU_CYCLE_1) | instskip(SKIP_1) | instid1(SALU_CYCLE_1)
	v_dual_mov_b32 v15, s1 :: v_dual_mov_b32 v14, s0
	s_and_b64 s[10:11], s[0:1], s[14:15]
	s_mul_u64 s[10:11], s[10:11], 24
	s_wait_loadcnt 0x0
	v_add_nc_u64_e32 v[6:7], s[10:11], v[12:13]
	global_store_b64 v[6:7], v[16:17], off
	global_wb scope:SCOPE_SYS
	s_wait_storecnt 0x0
	s_wait_xcnt 0x0
	global_atomic_cmpswap_b64 v[14:15], v9, v[14:17], s[2:3] offset:24 th:TH_ATOMIC_RETURN scope:SCOPE_SYS
	s_wait_loadcnt 0x0
	v_cmp_ne_u64_e32 vcc_lo, v[14:15], v[16:17]
	s_and_b32 exec_lo, exec_lo, vcc_lo
	s_cbranch_execz .LBB4_31
; %bb.105:                              ;   in Loop: Header=BB4_32 Depth=1
	s_mov_b32 s10, 0
.LBB4_106:                              ;   Parent Loop BB4_32 Depth=1
                                        ; =>  This Inner Loop Header: Depth=2
	v_dual_mov_b32 v12, s0 :: v_dual_mov_b32 v13, s1
	s_sleep 1
	global_store_b64 v[6:7], v[14:15], off
	global_wb scope:SCOPE_SYS
	s_wait_storecnt 0x0
	s_wait_xcnt 0x0
	global_atomic_cmpswap_b64 v[12:13], v9, v[12:15], s[2:3] offset:24 th:TH_ATOMIC_RETURN scope:SCOPE_SYS
	s_wait_loadcnt 0x0
	v_cmp_eq_u64_e32 vcc_lo, v[12:13], v[14:15]
	v_mov_b64_e32 v[14:15], v[12:13]
	s_or_b32 s10, vcc_lo, s10
	s_delay_alu instid0(SALU_CYCLE_1)
	s_and_not1_b32 exec_lo, exec_lo, s10
	s_cbranch_execnz .LBB4_106
	s_branch .LBB4_31
.LBB4_107:
	s_branch .LBB4_136
.LBB4_108:
                                        ; implicit-def: $vgpr4_vgpr5
	s_cbranch_execz .LBB4_136
; %bb.109:
	v_readfirstlane_b32 s0, v34
	s_wait_loadcnt 0x0
	v_mov_b64_e32 v[4:5], 0
	s_delay_alu instid0(VALU_DEP_2)
	v_cmp_eq_u32_e64 s0, s0, v34
	s_and_saveexec_b32 s1, s0
	s_cbranch_execz .LBB4_115
; %bb.110:
	v_mov_b32_e32 v1, 0
	s_mov_b32 s4, exec_lo
	global_load_b64 v[6:7], v1, s[2:3] offset:24 scope:SCOPE_SYS
	s_wait_loadcnt 0x0
	global_inv scope:SCOPE_SYS
	s_clause 0x1
	global_load_b64 v[4:5], v1, s[2:3] offset:40
	global_load_b64 v[8:9], v1, s[2:3]
	s_wait_loadcnt 0x1
	v_and_b32_e32 v4, v4, v6
	v_and_b32_e32 v5, v5, v7
	s_delay_alu instid0(VALU_DEP_1) | instskip(SKIP_1) | instid1(VALU_DEP_1)
	v_mul_u64_e32 v[4:5], 24, v[4:5]
	s_wait_loadcnt 0x0
	v_add_nc_u64_e32 v[4:5], v[8:9], v[4:5]
	global_load_b64 v[4:5], v[4:5], off scope:SCOPE_SYS
	s_wait_xcnt 0x0
	s_wait_loadcnt 0x0
	global_atomic_cmpswap_b64 v[4:5], v1, v[4:7], s[2:3] offset:24 th:TH_ATOMIC_RETURN scope:SCOPE_SYS
	s_wait_loadcnt 0x0
	global_inv scope:SCOPE_SYS
	s_wait_xcnt 0x0
	v_cmpx_ne_u64_e64 v[4:5], v[6:7]
	s_cbranch_execz .LBB4_114
; %bb.111:
	s_mov_b32 s5, 0
.LBB4_112:                              ; =>This Inner Loop Header: Depth=1
	s_sleep 1
	s_clause 0x1
	global_load_b64 v[8:9], v1, s[2:3] offset:40
	global_load_b64 v[10:11], v1, s[2:3]
	v_mov_b64_e32 v[6:7], v[4:5]
	s_wait_loadcnt 0x1
	s_delay_alu instid0(VALU_DEP_1) | instskip(NEXT) | instid1(VALU_DEP_2)
	v_and_b32_e32 v4, v8, v6
	v_and_b32_e32 v8, v9, v7
	s_wait_loadcnt 0x0
	s_delay_alu instid0(VALU_DEP_2) | instskip(NEXT) | instid1(VALU_DEP_1)
	v_mad_nc_u64_u32 v[4:5], v4, 24, v[10:11]
	v_mad_u32 v5, v8, 24, v5
	global_load_b64 v[4:5], v[4:5], off scope:SCOPE_SYS
	s_wait_xcnt 0x0
	s_wait_loadcnt 0x0
	global_atomic_cmpswap_b64 v[4:5], v1, v[4:7], s[2:3] offset:24 th:TH_ATOMIC_RETURN scope:SCOPE_SYS
	s_wait_loadcnt 0x0
	global_inv scope:SCOPE_SYS
	v_cmp_eq_u64_e32 vcc_lo, v[4:5], v[6:7]
	s_or_b32 s5, vcc_lo, s5
	s_wait_xcnt 0x0
	s_and_not1_b32 exec_lo, exec_lo, s5
	s_cbranch_execnz .LBB4_112
; %bb.113:
	s_or_b32 exec_lo, exec_lo, s5
.LBB4_114:
	s_delay_alu instid0(SALU_CYCLE_1)
	s_or_b32 exec_lo, exec_lo, s4
.LBB4_115:
	s_delay_alu instid0(SALU_CYCLE_1)
	s_or_b32 exec_lo, exec_lo, s1
	v_readfirstlane_b32 s4, v4
	v_mov_b32_e32 v1, 0
	v_readfirstlane_b32 s5, v5
	s_mov_b32 s1, exec_lo
	s_clause 0x1
	global_load_b64 v[10:11], v1, s[2:3] offset:40
	global_load_b128 v[6:9], v1, s[2:3]
	s_wait_loadcnt 0x1
	v_and_b32_e32 v4, s4, v10
	v_and_b32_e32 v5, s5, v11
	s_delay_alu instid0(VALU_DEP_1) | instskip(SKIP_1) | instid1(VALU_DEP_1)
	v_mul_u64_e32 v[10:11], 24, v[4:5]
	s_wait_loadcnt 0x0
	v_add_nc_u64_e32 v[10:11], v[6:7], v[10:11]
	s_wait_xcnt 0x0
	s_and_saveexec_b32 s6, s0
	s_cbranch_execz .LBB4_117
; %bb.116:
	v_mov_b64_e32 v[14:15], 0x100000002
	v_dual_mov_b32 v12, s1 :: v_dual_mov_b32 v13, v1
	global_store_b128 v[10:11], v[12:15], off offset:8
.LBB4_117:
	s_wait_xcnt 0x0
	s_or_b32 exec_lo, exec_lo, s6
	v_lshlrev_b64_e32 v[4:5], 12, v[4:5]
	s_mov_b32 s8, 0
	v_and_or_b32 v2, 0xffffff1f, v2, 32
	s_mov_b32 s10, s8
	s_mov_b32 s11, s8
	;; [unrolled: 1-line block ×3, first 2 shown]
	v_mov_b64_e32 v[14:15], s[10:11]
	v_add_nc_u64_e32 v[8:9], v[8:9], v[4:5]
	v_mov_b64_e32 v[12:13], s[8:9]
	v_dual_mov_b32 v4, v1 :: v_dual_mov_b32 v5, v1
	s_delay_alu instid0(VALU_DEP_3) | instskip(NEXT) | instid1(VALU_DEP_4)
	v_readfirstlane_b32 s6, v8
	v_readfirstlane_b32 s7, v9
	s_clause 0x3
	global_store_b128 v0, v[2:5], s[6:7]
	global_store_b128 v0, v[12:15], s[6:7] offset:16
	global_store_b128 v0, v[12:15], s[6:7] offset:32
	;; [unrolled: 1-line block ×3, first 2 shown]
	s_wait_xcnt 0x0
	s_and_saveexec_b32 s1, s0
	s_cbranch_execz .LBB4_125
; %bb.118:
	v_dual_mov_b32 v12, 0 :: v_dual_mov_b32 v15, s5
	s_mov_b32 s6, exec_lo
	s_clause 0x1
	global_load_b64 v[16:17], v12, s[2:3] offset:32 scope:SCOPE_SYS
	global_load_b64 v[2:3], v12, s[2:3] offset:40
	s_wait_loadcnt 0x0
	v_dual_mov_b32 v14, s4 :: v_dual_bitop2_b32 v3, s5, v3 bitop3:0x40
	v_and_b32_e32 v2, s4, v2
	s_delay_alu instid0(VALU_DEP_1) | instskip(NEXT) | instid1(VALU_DEP_1)
	v_mul_u64_e32 v[2:3], 24, v[2:3]
	v_add_nc_u64_e32 v[6:7], v[6:7], v[2:3]
	global_store_b64 v[6:7], v[16:17], off
	global_wb scope:SCOPE_SYS
	s_wait_storecnt 0x0
	s_wait_xcnt 0x0
	global_atomic_cmpswap_b64 v[4:5], v12, v[14:17], s[2:3] offset:32 th:TH_ATOMIC_RETURN scope:SCOPE_SYS
	s_wait_loadcnt 0x0
	v_cmpx_ne_u64_e64 v[4:5], v[16:17]
	s_cbranch_execz .LBB4_121
; %bb.119:
	s_mov_b32 s7, 0
.LBB4_120:                              ; =>This Inner Loop Header: Depth=1
	v_dual_mov_b32 v2, s4 :: v_dual_mov_b32 v3, s5
	s_sleep 1
	global_store_b64 v[6:7], v[4:5], off
	global_wb scope:SCOPE_SYS
	s_wait_storecnt 0x0
	s_wait_xcnt 0x0
	global_atomic_cmpswap_b64 v[2:3], v12, v[2:5], s[2:3] offset:32 th:TH_ATOMIC_RETURN scope:SCOPE_SYS
	s_wait_loadcnt 0x0
	v_cmp_eq_u64_e32 vcc_lo, v[2:3], v[4:5]
	v_mov_b64_e32 v[4:5], v[2:3]
	s_or_b32 s7, vcc_lo, s7
	s_delay_alu instid0(SALU_CYCLE_1)
	s_and_not1_b32 exec_lo, exec_lo, s7
	s_cbranch_execnz .LBB4_120
.LBB4_121:
	s_or_b32 exec_lo, exec_lo, s6
	v_mov_b32_e32 v5, 0
	s_mov_b32 s7, exec_lo
	s_mov_b32 s6, exec_lo
	v_mbcnt_lo_u32_b32 v4, s7, 0
	global_load_b64 v[2:3], v5, s[2:3] offset:16
	s_wait_xcnt 0x0
	v_cmpx_eq_u32_e32 0, v4
	s_cbranch_execz .LBB4_123
; %bb.122:
	s_bcnt1_i32_b32 s7, s7
	s_delay_alu instid0(SALU_CYCLE_1)
	v_mov_b32_e32 v4, s7
	global_wb scope:SCOPE_SYS
	s_wait_loadcnt 0x0
	s_wait_storecnt 0x0
	global_atomic_add_u64 v[2:3], v[4:5], off offset:8 scope:SCOPE_SYS
.LBB4_123:
	s_wait_xcnt 0x0
	s_or_b32 exec_lo, exec_lo, s6
	s_wait_loadcnt 0x0
	global_load_b64 v[4:5], v[2:3], off offset:16
	s_wait_loadcnt 0x0
	v_cmp_eq_u64_e32 vcc_lo, 0, v[4:5]
	s_cbranch_vccnz .LBB4_125
; %bb.124:
	global_load_b32 v2, v[2:3], off offset:24
	s_wait_xcnt 0x0
	v_mov_b32_e32 v3, 0
	s_wait_loadcnt 0x0
	v_readfirstlane_b32 s6, v2
	global_wb scope:SCOPE_SYS
	s_wait_storecnt 0x0
	global_store_b64 v[4:5], v[2:3], off scope:SCOPE_SYS
	s_and_b32 m0, s6, 0xffffff
	s_sendmsg sendmsg(MSG_INTERRUPT)
.LBB4_125:
	s_wait_xcnt 0x0
	s_or_b32 exec_lo, exec_lo, s1
	v_add_nc_u64_e32 v[2:3], v[8:9], v[0:1]
	s_branch .LBB4_129
.LBB4_126:                              ;   in Loop: Header=BB4_129 Depth=1
	s_wait_xcnt 0x0
	s_or_b32 exec_lo, exec_lo, s1
	s_delay_alu instid0(VALU_DEP_1)
	v_readfirstlane_b32 s1, v1
	s_cmp_eq_u32 s1, 0
	s_cbranch_scc1 .LBB4_128
; %bb.127:                              ;   in Loop: Header=BB4_129 Depth=1
	s_sleep 1
	s_cbranch_execnz .LBB4_129
	s_branch .LBB4_131
.LBB4_128:
	s_branch .LBB4_131
.LBB4_129:                              ; =>This Inner Loop Header: Depth=1
	v_mov_b32_e32 v1, 1
	s_and_saveexec_b32 s1, s0
	s_cbranch_execz .LBB4_126
; %bb.130:                              ;   in Loop: Header=BB4_129 Depth=1
	global_load_b32 v1, v[10:11], off offset:20 scope:SCOPE_SYS
	s_wait_loadcnt 0x0
	global_inv scope:SCOPE_SYS
	v_and_b32_e32 v1, 1, v1
	s_branch .LBB4_126
.LBB4_131:
	global_load_b64 v[4:5], v[2:3], off
	s_wait_xcnt 0x0
	s_and_saveexec_b32 s6, s0
	s_cbranch_execz .LBB4_135
; %bb.132:
	v_mov_b32_e32 v1, 0
	s_clause 0x2
	global_load_b64 v[2:3], v1, s[2:3] offset:40
	global_load_b64 v[10:11], v1, s[2:3] offset:24 scope:SCOPE_SYS
	global_load_b64 v[6:7], v1, s[2:3]
	s_wait_loadcnt 0x2
	v_readfirstlane_b32 s8, v2
	v_readfirstlane_b32 s9, v3
	s_add_nc_u64 s[0:1], s[8:9], 1
	s_delay_alu instid0(SALU_CYCLE_1) | instskip(NEXT) | instid1(SALU_CYCLE_1)
	s_add_nc_u64 s[4:5], s[0:1], s[4:5]
	s_cmp_eq_u64 s[4:5], 0
	s_cselect_b32 s1, s1, s5
	s_cselect_b32 s0, s0, s4
	v_mov_b32_e32 v9, s1
	s_and_b64 s[4:5], s[0:1], s[8:9]
	v_mov_b32_e32 v8, s0
	s_mul_u64 s[4:5], s[4:5], 24
	s_wait_loadcnt 0x0
	v_add_nc_u64_e32 v[2:3], s[4:5], v[6:7]
	global_store_b64 v[2:3], v[10:11], off
	global_wb scope:SCOPE_SYS
	s_wait_storecnt 0x0
	s_wait_xcnt 0x0
	global_atomic_cmpswap_b64 v[8:9], v1, v[8:11], s[2:3] offset:24 th:TH_ATOMIC_RETURN scope:SCOPE_SYS
	s_wait_loadcnt 0x0
	v_cmp_ne_u64_e32 vcc_lo, v[8:9], v[10:11]
	s_and_b32 exec_lo, exec_lo, vcc_lo
	s_cbranch_execz .LBB4_135
; %bb.133:
	s_mov_b32 s4, 0
.LBB4_134:                              ; =>This Inner Loop Header: Depth=1
	v_dual_mov_b32 v6, s0 :: v_dual_mov_b32 v7, s1
	s_sleep 1
	global_store_b64 v[2:3], v[8:9], off
	global_wb scope:SCOPE_SYS
	s_wait_storecnt 0x0
	s_wait_xcnt 0x0
	global_atomic_cmpswap_b64 v[6:7], v1, v[6:9], s[2:3] offset:24 th:TH_ATOMIC_RETURN scope:SCOPE_SYS
	s_wait_loadcnt 0x0
	v_cmp_eq_u64_e32 vcc_lo, v[6:7], v[8:9]
	v_mov_b64_e32 v[8:9], v[6:7]
	s_or_b32 s4, vcc_lo, s4
	s_delay_alu instid0(SALU_CYCLE_1)
	s_and_not1_b32 exec_lo, exec_lo, s4
	s_cbranch_execnz .LBB4_134
.LBB4_135:
	s_or_b32 exec_lo, exec_lo, s6
.LBB4_136:
	v_readfirstlane_b32 s0, v34
	s_wait_loadcnt 0x0
	v_mov_b64_e32 v[2:3], 0
	s_delay_alu instid0(VALU_DEP_2)
	v_cmp_eq_u32_e64 s0, s0, v34
	s_and_saveexec_b32 s1, s0
	s_cbranch_execz .LBB4_142
; %bb.137:
	v_mov_b32_e32 v1, 0
	s_mov_b32 s4, exec_lo
	global_load_b64 v[8:9], v1, s[2:3] offset:24 scope:SCOPE_SYS
	s_wait_loadcnt 0x0
	global_inv scope:SCOPE_SYS
	s_clause 0x1
	global_load_b64 v[2:3], v1, s[2:3] offset:40
	global_load_b64 v[6:7], v1, s[2:3]
	s_wait_loadcnt 0x1
	v_and_b32_e32 v2, v2, v8
	v_and_b32_e32 v3, v3, v9
	s_delay_alu instid0(VALU_DEP_1) | instskip(SKIP_1) | instid1(VALU_DEP_1)
	v_mul_u64_e32 v[2:3], 24, v[2:3]
	s_wait_loadcnt 0x0
	v_add_nc_u64_e32 v[2:3], v[6:7], v[2:3]
	global_load_b64 v[6:7], v[2:3], off scope:SCOPE_SYS
	s_wait_xcnt 0x0
	s_wait_loadcnt 0x0
	global_atomic_cmpswap_b64 v[2:3], v1, v[6:9], s[2:3] offset:24 th:TH_ATOMIC_RETURN scope:SCOPE_SYS
	s_wait_loadcnt 0x0
	global_inv scope:SCOPE_SYS
	s_wait_xcnt 0x0
	v_cmpx_ne_u64_e64 v[2:3], v[8:9]
	s_cbranch_execz .LBB4_141
; %bb.138:
	s_mov_b32 s5, 0
.LBB4_139:                              ; =>This Inner Loop Header: Depth=1
	s_sleep 1
	s_clause 0x1
	global_load_b64 v[6:7], v1, s[2:3] offset:40
	global_load_b64 v[10:11], v1, s[2:3]
	v_mov_b64_e32 v[8:9], v[2:3]
	s_wait_loadcnt 0x1
	s_delay_alu instid0(VALU_DEP_1) | instskip(NEXT) | instid1(VALU_DEP_2)
	v_and_b32_e32 v2, v6, v8
	v_and_b32_e32 v6, v7, v9
	s_wait_loadcnt 0x0
	s_delay_alu instid0(VALU_DEP_2) | instskip(NEXT) | instid1(VALU_DEP_1)
	v_mad_nc_u64_u32 v[2:3], v2, 24, v[10:11]
	v_mad_u32 v3, v6, 24, v3
	global_load_b64 v[6:7], v[2:3], off scope:SCOPE_SYS
	s_wait_xcnt 0x0
	s_wait_loadcnt 0x0
	global_atomic_cmpswap_b64 v[2:3], v1, v[6:9], s[2:3] offset:24 th:TH_ATOMIC_RETURN scope:SCOPE_SYS
	s_wait_loadcnt 0x0
	global_inv scope:SCOPE_SYS
	v_cmp_eq_u64_e32 vcc_lo, v[2:3], v[8:9]
	s_or_b32 s5, vcc_lo, s5
	s_wait_xcnt 0x0
	s_and_not1_b32 exec_lo, exec_lo, s5
	s_cbranch_execnz .LBB4_139
; %bb.140:
	s_or_b32 exec_lo, exec_lo, s5
.LBB4_141:
	s_delay_alu instid0(SALU_CYCLE_1)
	s_or_b32 exec_lo, exec_lo, s4
.LBB4_142:
	s_delay_alu instid0(SALU_CYCLE_1)
	s_or_b32 exec_lo, exec_lo, s1
	v_readfirstlane_b32 s4, v2
	v_mov_b32_e32 v7, 0
	v_readfirstlane_b32 s5, v3
	s_mov_b32 s1, exec_lo
	s_clause 0x1
	global_load_b64 v[12:13], v7, s[2:3] offset:40
	global_load_b128 v[8:11], v7, s[2:3]
	s_wait_loadcnt 0x1
	v_and_b32_e32 v2, s4, v12
	v_and_b32_e32 v3, s5, v13
	s_delay_alu instid0(VALU_DEP_1) | instskip(SKIP_1) | instid1(VALU_DEP_1)
	v_mul_u64_e32 v[12:13], 24, v[2:3]
	s_wait_loadcnt 0x0
	v_add_nc_u64_e32 v[12:13], v[8:9], v[12:13]
	s_wait_xcnt 0x0
	s_and_saveexec_b32 s6, s0
	s_cbranch_execz .LBB4_144
; %bb.143:
	v_mov_b32_e32 v6, s1
	v_mov_b64_e32 v[16:17], 0x100000002
	s_delay_alu instid0(VALU_DEP_2)
	v_mov_b64_e32 v[14:15], v[6:7]
	global_store_b128 v[12:13], v[14:17], off offset:8
.LBB4_144:
	s_wait_xcnt 0x0
	s_or_b32 exec_lo, exec_lo, s6
	v_lshlrev_b64_e32 v[2:3], 12, v[2:3]
	s_mov_b32 s8, 0
	v_and_or_b32 v4, 0xffffff1d, v4, 34
	s_mov_b32 s10, s8
	s_mov_b32 s11, s8
	;; [unrolled: 1-line block ×3, first 2 shown]
	v_mov_b64_e32 v[16:17], s[10:11]
	v_add_nc_u64_e32 v[2:3], v[10:11], v[2:3]
	v_mov_b64_e32 v[14:15], s[8:9]
	v_mov_b32_e32 v6, v29
	s_delay_alu instid0(VALU_DEP_3) | instskip(NEXT) | instid1(VALU_DEP_4)
	v_readfirstlane_b32 s6, v2
	v_readfirstlane_b32 s7, v3
	s_clause 0x3
	global_store_b128 v0, v[4:7], s[6:7]
	global_store_b128 v0, v[14:17], s[6:7] offset:16
	global_store_b128 v0, v[14:17], s[6:7] offset:32
	;; [unrolled: 1-line block ×3, first 2 shown]
	s_wait_xcnt 0x0
	s_and_saveexec_b32 s1, s0
	s_cbranch_execz .LBB4_152
; %bb.145:
	v_mov_b32_e32 v6, 0
	s_mov_b32 s6, exec_lo
	s_clause 0x1
	global_load_b64 v[10:11], v6, s[2:3] offset:32 scope:SCOPE_SYS
	global_load_b64 v[0:1], v6, s[2:3] offset:40
	s_wait_loadcnt 0x0
	v_and_b32_e32 v0, s4, v0
	v_and_b32_e32 v1, s5, v1
	s_delay_alu instid0(VALU_DEP_1) | instskip(NEXT) | instid1(VALU_DEP_1)
	v_mul_u64_e32 v[0:1], 24, v[0:1]
	v_add_nc_u64_e32 v[4:5], v[8:9], v[0:1]
	v_dual_mov_b32 v8, s4 :: v_dual_mov_b32 v9, s5
	global_store_b64 v[4:5], v[10:11], off
	global_wb scope:SCOPE_SYS
	s_wait_storecnt 0x0
	s_wait_xcnt 0x0
	global_atomic_cmpswap_b64 v[2:3], v6, v[8:11], s[2:3] offset:32 th:TH_ATOMIC_RETURN scope:SCOPE_SYS
	s_wait_loadcnt 0x0
	v_cmpx_ne_u64_e64 v[2:3], v[10:11]
	s_cbranch_execz .LBB4_148
; %bb.146:
	s_mov_b32 s7, 0
.LBB4_147:                              ; =>This Inner Loop Header: Depth=1
	v_dual_mov_b32 v0, s4 :: v_dual_mov_b32 v1, s5
	s_sleep 1
	global_store_b64 v[4:5], v[2:3], off
	global_wb scope:SCOPE_SYS
	s_wait_storecnt 0x0
	s_wait_xcnt 0x0
	global_atomic_cmpswap_b64 v[0:1], v6, v[0:3], s[2:3] offset:32 th:TH_ATOMIC_RETURN scope:SCOPE_SYS
	s_wait_loadcnt 0x0
	v_cmp_eq_u64_e32 vcc_lo, v[0:1], v[2:3]
	v_mov_b64_e32 v[2:3], v[0:1]
	s_or_b32 s7, vcc_lo, s7
	s_delay_alu instid0(SALU_CYCLE_1)
	s_and_not1_b32 exec_lo, exec_lo, s7
	s_cbranch_execnz .LBB4_147
.LBB4_148:
	s_or_b32 exec_lo, exec_lo, s6
	v_mov_b32_e32 v3, 0
	s_mov_b32 s7, exec_lo
	s_mov_b32 s6, exec_lo
	v_mbcnt_lo_u32_b32 v2, s7, 0
	global_load_b64 v[0:1], v3, s[2:3] offset:16
	s_wait_xcnt 0x0
	v_cmpx_eq_u32_e32 0, v2
	s_cbranch_execz .LBB4_150
; %bb.149:
	s_bcnt1_i32_b32 s7, s7
	s_delay_alu instid0(SALU_CYCLE_1)
	v_mov_b32_e32 v2, s7
	global_wb scope:SCOPE_SYS
	s_wait_loadcnt 0x0
	s_wait_storecnt 0x0
	global_atomic_add_u64 v[0:1], v[2:3], off offset:8 scope:SCOPE_SYS
.LBB4_150:
	s_wait_xcnt 0x0
	s_or_b32 exec_lo, exec_lo, s6
	s_wait_loadcnt 0x0
	global_load_b64 v[2:3], v[0:1], off offset:16
	s_wait_loadcnt 0x0
	v_cmp_eq_u64_e32 vcc_lo, 0, v[2:3]
	s_cbranch_vccnz .LBB4_152
; %bb.151:
	global_load_b32 v0, v[0:1], off offset:24
	s_wait_xcnt 0x0
	v_mov_b32_e32 v1, 0
	s_wait_loadcnt 0x0
	v_readfirstlane_b32 s6, v0
	global_wb scope:SCOPE_SYS
	s_wait_storecnt 0x0
	global_store_b64 v[2:3], v[0:1], off scope:SCOPE_SYS
	s_and_b32 m0, s6, 0xffffff
	s_sendmsg sendmsg(MSG_INTERRUPT)
.LBB4_152:
	s_wait_xcnt 0x0
	s_or_b32 exec_lo, exec_lo, s1
	s_branch .LBB4_156
.LBB4_153:                              ;   in Loop: Header=BB4_156 Depth=1
	s_wait_xcnt 0x0
	s_or_b32 exec_lo, exec_lo, s1
	s_delay_alu instid0(VALU_DEP_1)
	v_readfirstlane_b32 s1, v0
	s_cmp_eq_u32 s1, 0
	s_cbranch_scc1 .LBB4_155
; %bb.154:                              ;   in Loop: Header=BB4_156 Depth=1
	s_sleep 1
	s_cbranch_execnz .LBB4_156
	s_branch .LBB4_158
.LBB4_155:
	s_branch .LBB4_158
.LBB4_156:                              ; =>This Inner Loop Header: Depth=1
	v_mov_b32_e32 v0, 1
	s_and_saveexec_b32 s1, s0
	s_cbranch_execz .LBB4_153
; %bb.157:                              ;   in Loop: Header=BB4_156 Depth=1
	global_load_b32 v0, v[12:13], off offset:20 scope:SCOPE_SYS
	s_wait_loadcnt 0x0
	global_inv scope:SCOPE_SYS
	v_and_b32_e32 v0, 1, v0
	s_branch .LBB4_153
.LBB4_158:
	s_and_saveexec_b32 s1, s0
	s_cbranch_execz .LBB4_162
; %bb.159:
	v_mov_b32_e32 v6, 0
	s_clause 0x2
	global_load_b64 v[0:1], v6, s[2:3] offset:40
	global_load_b64 v[10:11], v6, s[2:3] offset:24 scope:SCOPE_SYS
	global_load_b64 v[2:3], v6, s[2:3]
	s_wait_loadcnt 0x2
	v_readfirstlane_b32 s6, v0
	v_readfirstlane_b32 s7, v1
	s_add_nc_u64 s[0:1], s[6:7], 1
	s_delay_alu instid0(SALU_CYCLE_1) | instskip(NEXT) | instid1(SALU_CYCLE_1)
	s_add_nc_u64 s[4:5], s[0:1], s[4:5]
	s_cmp_eq_u64 s[4:5], 0
	s_cselect_b32 s1, s1, s5
	s_cselect_b32 s0, s0, s4
	v_mov_b32_e32 v9, s1
	s_and_b64 s[4:5], s[0:1], s[6:7]
	v_mov_b32_e32 v8, s0
	s_mul_u64 s[4:5], s[4:5], 24
	s_wait_loadcnt 0x0
	v_add_nc_u64_e32 v[4:5], s[4:5], v[2:3]
	global_store_b64 v[4:5], v[10:11], off
	global_wb scope:SCOPE_SYS
	s_wait_storecnt 0x0
	s_wait_xcnt 0x0
	global_atomic_cmpswap_b64 v[2:3], v6, v[8:11], s[2:3] offset:24 th:TH_ATOMIC_RETURN scope:SCOPE_SYS
	s_wait_loadcnt 0x0
	v_cmp_ne_u64_e32 vcc_lo, v[2:3], v[10:11]
	s_and_b32 exec_lo, exec_lo, vcc_lo
	s_cbranch_execz .LBB4_162
; %bb.160:
	s_mov_b32 s4, 0
.LBB4_161:                              ; =>This Inner Loop Header: Depth=1
	v_dual_mov_b32 v0, s0 :: v_dual_mov_b32 v1, s1
	s_sleep 1
	global_store_b64 v[4:5], v[2:3], off
	global_wb scope:SCOPE_SYS
	s_wait_storecnt 0x0
	s_wait_xcnt 0x0
	global_atomic_cmpswap_b64 v[0:1], v6, v[0:3], s[2:3] offset:24 th:TH_ATOMIC_RETURN scope:SCOPE_SYS
	s_wait_loadcnt 0x0
	v_cmp_eq_u64_e32 vcc_lo, v[0:1], v[2:3]
	v_mov_b64_e32 v[2:3], v[0:1]
	s_or_b32 s4, vcc_lo, s4
	s_delay_alu instid0(SALU_CYCLE_1)
	s_and_not1_b32 exec_lo, exec_lo, s4
	s_cbranch_execnz .LBB4_161
.LBB4_162:
	s_endpgm
	.section	.rodata,"a",@progbits
	.p2align	6, 0x0
	.amdhsa_kernel _ZL8kerWritev
		.amdhsa_group_segment_fixed_size 0
		.amdhsa_private_segment_fixed_size 0
		.amdhsa_kernarg_size 256
		.amdhsa_user_sgpr_count 6
		.amdhsa_user_sgpr_dispatch_ptr 0
		.amdhsa_user_sgpr_queue_ptr 0
		.amdhsa_user_sgpr_kernarg_segment_ptr 1
		.amdhsa_user_sgpr_dispatch_id 0
		.amdhsa_user_sgpr_kernarg_preload_length 4
		.amdhsa_user_sgpr_kernarg_preload_offset 0
		.amdhsa_user_sgpr_private_segment_size 0
		.amdhsa_wavefront_size32 1
		.amdhsa_uses_dynamic_stack 0
		.amdhsa_enable_private_segment 0
		.amdhsa_system_sgpr_workgroup_id_x 1
		.amdhsa_system_sgpr_workgroup_id_y 0
		.amdhsa_system_sgpr_workgroup_id_z 0
		.amdhsa_system_sgpr_workgroup_info 0
		.amdhsa_system_vgpr_workitem_id 0
		.amdhsa_next_free_vgpr 35
		.amdhsa_next_free_sgpr 18
		.amdhsa_named_barrier_count 0
		.amdhsa_reserve_vcc 1
		.amdhsa_float_round_mode_32 0
		.amdhsa_float_round_mode_16_64 0
		.amdhsa_float_denorm_mode_32 3
		.amdhsa_float_denorm_mode_16_64 3
		.amdhsa_fp16_overflow 0
		.amdhsa_memory_ordered 1
		.amdhsa_forward_progress 1
		.amdhsa_inst_pref_size 54
		.amdhsa_round_robin_scheduling 0
		.amdhsa_exception_fp_ieee_invalid_op 0
		.amdhsa_exception_fp_denorm_src 0
		.amdhsa_exception_fp_ieee_div_zero 0
		.amdhsa_exception_fp_ieee_overflow 0
		.amdhsa_exception_fp_ieee_underflow 0
		.amdhsa_exception_fp_ieee_inexact 0
		.amdhsa_exception_int_div_zero 0
	.end_amdhsa_kernel
	.text
.Lfunc_end4:
	.size	_ZL8kerWritev, .Lfunc_end4-_ZL8kerWritev
                                        ; -- End function
	.set _ZL8kerWritev.num_vgpr, 35
	.set _ZL8kerWritev.num_agpr, 0
	.set _ZL8kerWritev.numbered_sgpr, 18
	.set _ZL8kerWritev.num_named_barrier, 0
	.set _ZL8kerWritev.private_seg_size, 0
	.set _ZL8kerWritev.uses_vcc, 1
	.set _ZL8kerWritev.uses_flat_scratch, 0
	.set _ZL8kerWritev.has_dyn_sized_stack, 0
	.set _ZL8kerWritev.has_recursion, 0
	.set _ZL8kerWritev.has_indirect_call, 0
	.section	.AMDGPU.csdata,"",@progbits
; Kernel info:
; codeLenInByte = 6892
; TotalNumSgprs: 20
; NumVgprs: 35
; ScratchSize: 0
; MemoryBound: 0
; FloatMode: 240
; IeeeMode: 1
; LDSByteSize: 0 bytes/workgroup (compile time only)
; SGPRBlocks: 0
; VGPRBlocks: 2
; NumSGPRsForWavesPerEU: 20
; NumVGPRsForWavesPerEU: 35
; NamedBarCnt: 0
; Occupancy: 16
; WaveLimiterHint : 1
; COMPUTE_PGM_RSRC2:SCRATCH_EN: 0
; COMPUTE_PGM_RSRC2:USER_SGPR: 6
; COMPUTE_PGM_RSRC2:TRAP_HANDLER: 0
; COMPUTE_PGM_RSRC2:TGID_X_EN: 1
; COMPUTE_PGM_RSRC2:TGID_Y_EN: 0
; COMPUTE_PGM_RSRC2:TGID_Z_EN: 0
; COMPUTE_PGM_RSRC2:TIDIG_COMP_CNT: 0
	.section	.text._ZL7kerFreePii,"axG",@progbits,_ZL7kerFreePii,comdat
	.globl	_ZL7kerFreePii                  ; -- Begin function _ZL7kerFreePii
	.p2align	8
	.type	_ZL7kerFreePii,@function
_ZL7kerFreePii:                         ; @_ZL7kerFreePii
; %bb.0:
	s_load_b32 s4, s[0:1], 0x1c
	s_get_pc_i64 s[2:3]
	s_add_nc_u64 s[2:3], s[2:3], _ZL14dev_common_ptr@rel64+4
	s_getreg_b32 s5, hwreg(HW_REG_IB_STS2, 6, 4)
	s_load_b64 s[16:17], s[2:3], 0x0
	s_wait_xcnt 0x0
	s_bfe_u32 s2, ttmp6, 0x4000c
	s_and_b32 s3, ttmp6, 15
	s_add_co_i32 s2, s2, 1
	s_add_nc_u64 s[8:9], s[0:1], 16
	s_mul_i32 s6, ttmp9, s2
	s_mov_b32 s32, 0
	s_add_co_i32 s3, s3, s6
	s_wait_kmcnt 0x0
	s_and_b32 s2, s4, 0xffff
	s_cmp_eq_u32 s5, 0
	s_cselect_b32 s3, ttmp9, s3
	s_cmp_lg_u64 s[16:17], 0
	v_mad_u32 v29, s3, s2, v0
	s_cbranch_scc0 .LBB5_8
; %bb.1:
	s_mov_b32 s18, exec_lo
	s_delay_alu instid0(VALU_DEP_1)
	v_cmpx_eq_u32_e32 0, v29
	s_cbranch_execz .LBB5_7
; %bb.2:
	s_load_b32 s3, s[8:9], 0x0
	s_wait_kmcnt 0x0
	s_mul_i32 s2, s3, s2
	s_mov_b32 s3, 0
	s_cmp_eq_u32 s2, 0
	s_cbranch_scc1 .LBB5_5
; %bb.3:
	s_load_b64 s[4:5], s[0:1], 0x0
	v_mov_b32_e32 v0, 0
	s_mov_b64 s[6:7], s[16:17]
.LBB5_4:                                ; =>This Inner Loop Header: Depth=1
	flat_load_b32 v1, v0, s[6:7]
	s_add_nc_u64 s[2:3], s[2:3], -1
	s_wait_xcnt 0x0
	s_add_nc_u64 s[6:7], s[6:7], 4
	s_cmp_eq_u64 s[2:3], 0
	s_wait_loadcnt_dscnt 0x0
	s_wait_kmcnt 0x0
	global_store_b32 v0, v1, s[4:5]
	s_wait_xcnt 0x0
	s_add_nc_u64 s[4:5], s[4:5], 4
	s_cbranch_scc0 .LBB5_4
.LBB5_5:
	s_load_b32 s0, s[0:1], 0x8
	s_wait_kmcnt 0x0
	s_cmp_lg_u32 s0, 1
	s_mov_b32 s0, -1
	s_cbranch_scc1 .LBB5_169
; %bb.6:
	s_and_not1_b32 vcc_lo, exec_lo, s0
	s_cbranch_vccz .LBB5_170
.LBB5_7:
	s_or_b32 exec_lo, exec_lo, s18
	s_cbranch_execz .LBB5_9
	s_branch .LBB5_168
.LBB5_8:
.LBB5_9:
	s_load_b64 s[2:3], s[8:9], 0x50
	v_mbcnt_lo_u32_b32 v34, -1, 0
	v_mov_b64_e32 v[2:3], 0
	s_delay_alu instid0(VALU_DEP_2) | instskip(NEXT) | instid1(VALU_DEP_1)
	v_readfirstlane_b32 s0, v34
	v_cmp_eq_u32_e64 s0, s0, v34
	s_and_saveexec_b32 s1, s0
	s_cbranch_execz .LBB5_15
; %bb.10:
	v_mov_b32_e32 v0, 0
	s_mov_b32 s4, exec_lo
	s_wait_kmcnt 0x0
	global_load_b64 v[4:5], v0, s[2:3] offset:24 scope:SCOPE_SYS
	s_wait_loadcnt 0x0
	global_inv scope:SCOPE_SYS
	s_clause 0x1
	global_load_b64 v[2:3], v0, s[2:3] offset:40
	global_load_b64 v[6:7], v0, s[2:3]
	s_wait_loadcnt 0x1
	v_and_b32_e32 v2, v2, v4
	v_and_b32_e32 v3, v3, v5
	s_delay_alu instid0(VALU_DEP_1) | instskip(SKIP_1) | instid1(VALU_DEP_1)
	v_mul_u64_e32 v[2:3], 24, v[2:3]
	s_wait_loadcnt 0x0
	v_add_nc_u64_e32 v[2:3], v[6:7], v[2:3]
	global_load_b64 v[2:3], v[2:3], off scope:SCOPE_SYS
	s_wait_xcnt 0x0
	s_wait_loadcnt 0x0
	global_atomic_cmpswap_b64 v[2:3], v0, v[2:5], s[2:3] offset:24 th:TH_ATOMIC_RETURN scope:SCOPE_SYS
	s_wait_loadcnt 0x0
	global_inv scope:SCOPE_SYS
	s_wait_xcnt 0x0
	v_cmpx_ne_u64_e64 v[2:3], v[4:5]
	s_cbranch_execz .LBB5_14
; %bb.11:
	s_mov_b32 s5, 0
.LBB5_12:                               ; =>This Inner Loop Header: Depth=1
	s_sleep 1
	s_clause 0x1
	global_load_b64 v[6:7], v0, s[2:3] offset:40
	global_load_b64 v[8:9], v0, s[2:3]
	v_mov_b64_e32 v[4:5], v[2:3]
	s_wait_loadcnt 0x1
	s_delay_alu instid0(VALU_DEP_1) | instskip(SKIP_1) | instid1(VALU_DEP_1)
	v_and_b32_e32 v1, v6, v4
	s_wait_loadcnt 0x0
	v_mad_nc_u64_u32 v[2:3], v1, 24, v[8:9]
	s_delay_alu instid0(VALU_DEP_3) | instskip(NEXT) | instid1(VALU_DEP_1)
	v_and_b32_e32 v1, v7, v5
	v_mad_u32 v3, v1, 24, v3
	global_load_b64 v[2:3], v[2:3], off scope:SCOPE_SYS
	s_wait_xcnt 0x0
	s_wait_loadcnt 0x0
	global_atomic_cmpswap_b64 v[2:3], v0, v[2:5], s[2:3] offset:24 th:TH_ATOMIC_RETURN scope:SCOPE_SYS
	s_wait_loadcnt 0x0
	global_inv scope:SCOPE_SYS
	v_cmp_eq_u64_e32 vcc_lo, v[2:3], v[4:5]
	s_or_b32 s5, vcc_lo, s5
	s_wait_xcnt 0x0
	s_and_not1_b32 exec_lo, exec_lo, s5
	s_cbranch_execnz .LBB5_12
; %bb.13:
	s_or_b32 exec_lo, exec_lo, s5
.LBB5_14:
	s_delay_alu instid0(SALU_CYCLE_1)
	s_or_b32 exec_lo, exec_lo, s4
.LBB5_15:
	s_delay_alu instid0(SALU_CYCLE_1)
	s_or_b32 exec_lo, exec_lo, s1
	v_readfirstlane_b32 s4, v2
	v_mov_b32_e32 v1, 0
	v_readfirstlane_b32 s5, v3
	s_mov_b32 s1, exec_lo
	s_wait_kmcnt 0x0
	s_clause 0x1
	global_load_b64 v[8:9], v1, s[2:3] offset:40
	global_load_b128 v[4:7], v1, s[2:3]
	s_wait_loadcnt 0x1
	v_and_b32_e32 v10, s4, v8
	v_and_b32_e32 v11, s5, v9
	s_delay_alu instid0(VALU_DEP_1) | instskip(SKIP_1) | instid1(VALU_DEP_1)
	v_mul_u64_e32 v[2:3], 24, v[10:11]
	s_wait_loadcnt 0x0
	v_add_nc_u64_e32 v[8:9], v[4:5], v[2:3]
	s_wait_xcnt 0x0
	s_and_saveexec_b32 s6, s0
	s_cbranch_execz .LBB5_17
; %bb.16:
	v_mov_b64_e32 v[2:3], 0x100000002
	v_mov_b32_e32 v0, s1
	global_store_b128 v[8:9], v[0:3], off offset:8
.LBB5_17:
	s_wait_xcnt 0x0
	s_or_b32 exec_lo, exec_lo, s6
	v_lshlrev_b64_e32 v[2:3], 12, v[10:11]
	s_mov_b32 s8, 0
	v_dual_lshlrev_b32 v0, 6, v34 :: v_dual_mov_b32 v10, 33
	s_mov_b32 s10, s8
	s_mov_b32 s11, s8
	;; [unrolled: 1-line block ×3, first 2 shown]
	s_delay_alu instid0(VALU_DEP_2)
	v_add_nc_u64_e32 v[6:7], v[6:7], v[2:3]
	v_mov_b64_e32 v[16:17], s[10:11]
	v_mov_b64_e32 v[14:15], s[8:9]
	v_dual_mov_b32 v11, v1 :: v_dual_mov_b32 v12, v1
	v_mov_b32_e32 v13, v1
	v_readfirstlane_b32 s6, v6
	v_readfirstlane_b32 s7, v7
	s_clause 0x3
	global_store_b128 v0, v[10:13], s[6:7]
	global_store_b128 v0, v[14:17], s[6:7] offset:16
	global_store_b128 v0, v[14:17], s[6:7] offset:32
	;; [unrolled: 1-line block ×3, first 2 shown]
	s_wait_xcnt 0x0
	s_and_saveexec_b32 s1, s0
	s_cbranch_execz .LBB5_25
; %bb.18:
	v_dual_mov_b32 v12, 0 :: v_dual_mov_b32 v15, s5
	s_mov_b32 s6, exec_lo
	s_clause 0x1
	global_load_b64 v[16:17], v12, s[2:3] offset:32 scope:SCOPE_SYS
	global_load_b64 v[2:3], v12, s[2:3] offset:40
	s_wait_loadcnt 0x0
	v_dual_mov_b32 v14, s4 :: v_dual_bitop2_b32 v3, s5, v3 bitop3:0x40
	v_and_b32_e32 v2, s4, v2
	s_delay_alu instid0(VALU_DEP_1) | instskip(NEXT) | instid1(VALU_DEP_1)
	v_mul_u64_e32 v[2:3], 24, v[2:3]
	v_add_nc_u64_e32 v[10:11], v[4:5], v[2:3]
	global_store_b64 v[10:11], v[16:17], off
	global_wb scope:SCOPE_SYS
	s_wait_storecnt 0x0
	s_wait_xcnt 0x0
	global_atomic_cmpswap_b64 v[4:5], v12, v[14:17], s[2:3] offset:32 th:TH_ATOMIC_RETURN scope:SCOPE_SYS
	s_wait_loadcnt 0x0
	v_cmpx_ne_u64_e64 v[4:5], v[16:17]
	s_cbranch_execz .LBB5_21
; %bb.19:
	s_mov_b32 s7, 0
.LBB5_20:                               ; =>This Inner Loop Header: Depth=1
	v_dual_mov_b32 v2, s4 :: v_dual_mov_b32 v3, s5
	s_sleep 1
	global_store_b64 v[10:11], v[4:5], off
	global_wb scope:SCOPE_SYS
	s_wait_storecnt 0x0
	s_wait_xcnt 0x0
	global_atomic_cmpswap_b64 v[2:3], v12, v[2:5], s[2:3] offset:32 th:TH_ATOMIC_RETURN scope:SCOPE_SYS
	s_wait_loadcnt 0x0
	v_cmp_eq_u64_e32 vcc_lo, v[2:3], v[4:5]
	v_mov_b64_e32 v[4:5], v[2:3]
	s_or_b32 s7, vcc_lo, s7
	s_delay_alu instid0(SALU_CYCLE_1)
	s_and_not1_b32 exec_lo, exec_lo, s7
	s_cbranch_execnz .LBB5_20
.LBB5_21:
	s_or_b32 exec_lo, exec_lo, s6
	v_mov_b32_e32 v5, 0
	s_mov_b32 s7, exec_lo
	s_mov_b32 s6, exec_lo
	v_mbcnt_lo_u32_b32 v4, s7, 0
	global_load_b64 v[2:3], v5, s[2:3] offset:16
	s_wait_xcnt 0x0
	v_cmpx_eq_u32_e32 0, v4
	s_cbranch_execz .LBB5_23
; %bb.22:
	s_bcnt1_i32_b32 s7, s7
	s_delay_alu instid0(SALU_CYCLE_1)
	v_mov_b32_e32 v4, s7
	global_wb scope:SCOPE_SYS
	s_wait_loadcnt 0x0
	s_wait_storecnt 0x0
	global_atomic_add_u64 v[2:3], v[4:5], off offset:8 scope:SCOPE_SYS
.LBB5_23:
	s_wait_xcnt 0x0
	s_or_b32 exec_lo, exec_lo, s6
	s_wait_loadcnt 0x0
	global_load_b64 v[4:5], v[2:3], off offset:16
	s_wait_loadcnt 0x0
	v_cmp_eq_u64_e32 vcc_lo, 0, v[4:5]
	s_cbranch_vccnz .LBB5_25
; %bb.24:
	global_load_b32 v2, v[2:3], off offset:24
	s_wait_xcnt 0x0
	v_mov_b32_e32 v3, 0
	s_wait_loadcnt 0x0
	v_readfirstlane_b32 s6, v2
	global_wb scope:SCOPE_SYS
	s_wait_storecnt 0x0
	global_store_b64 v[4:5], v[2:3], off scope:SCOPE_SYS
	s_and_b32 m0, s6, 0xffffff
	s_sendmsg sendmsg(MSG_INTERRUPT)
.LBB5_25:
	s_wait_xcnt 0x0
	s_or_b32 exec_lo, exec_lo, s1
	v_add_nc_u64_e32 v[2:3], v[6:7], v[0:1]
	s_branch .LBB5_29
.LBB5_26:                               ;   in Loop: Header=BB5_29 Depth=1
	s_wait_xcnt 0x0
	s_or_b32 exec_lo, exec_lo, s1
	s_delay_alu instid0(VALU_DEP_1)
	v_readfirstlane_b32 s1, v1
	s_cmp_eq_u32 s1, 0
	s_cbranch_scc1 .LBB5_28
; %bb.27:                               ;   in Loop: Header=BB5_29 Depth=1
	s_sleep 1
	s_cbranch_execnz .LBB5_29
	s_branch .LBB5_31
.LBB5_28:
	s_branch .LBB5_31
.LBB5_29:                               ; =>This Inner Loop Header: Depth=1
	v_mov_b32_e32 v1, 1
	s_and_saveexec_b32 s1, s0
	s_cbranch_execz .LBB5_26
; %bb.30:                               ;   in Loop: Header=BB5_29 Depth=1
	global_load_b32 v1, v[8:9], off offset:20 scope:SCOPE_SYS
	s_wait_loadcnt 0x0
	global_inv scope:SCOPE_SYS
	v_and_b32_e32 v1, 1, v1
	s_branch .LBB5_26
.LBB5_31:
	global_load_b64 v[2:3], v[2:3], off
	s_wait_xcnt 0x0
	s_and_saveexec_b32 s6, s0
	s_cbranch_execz .LBB5_35
; %bb.32:
	v_mov_b32_e32 v1, 0
	s_clause 0x2
	global_load_b64 v[4:5], v1, s[2:3] offset:40
	global_load_b64 v[12:13], v1, s[2:3] offset:24 scope:SCOPE_SYS
	global_load_b64 v[6:7], v1, s[2:3]
	s_wait_loadcnt 0x2
	v_readfirstlane_b32 s8, v4
	v_readfirstlane_b32 s9, v5
	s_add_nc_u64 s[0:1], s[8:9], 1
	s_delay_alu instid0(SALU_CYCLE_1) | instskip(NEXT) | instid1(SALU_CYCLE_1)
	s_add_nc_u64 s[4:5], s[0:1], s[4:5]
	s_cmp_eq_u64 s[4:5], 0
	s_cselect_b32 s1, s1, s5
	s_cselect_b32 s0, s0, s4
	v_mov_b32_e32 v11, s1
	s_and_b64 s[4:5], s[0:1], s[8:9]
	v_mov_b32_e32 v10, s0
	s_mul_u64 s[4:5], s[4:5], 24
	s_wait_loadcnt 0x0
	v_add_nc_u64_e32 v[8:9], s[4:5], v[6:7]
	global_store_b64 v[8:9], v[12:13], off
	global_wb scope:SCOPE_SYS
	s_wait_storecnt 0x0
	s_wait_xcnt 0x0
	global_atomic_cmpswap_b64 v[6:7], v1, v[10:13], s[2:3] offset:24 th:TH_ATOMIC_RETURN scope:SCOPE_SYS
	s_wait_loadcnt 0x0
	v_cmp_ne_u64_e32 vcc_lo, v[6:7], v[12:13]
	s_and_b32 exec_lo, exec_lo, vcc_lo
	s_cbranch_execz .LBB5_35
; %bb.33:
	s_mov_b32 s4, 0
.LBB5_34:                               ; =>This Inner Loop Header: Depth=1
	v_dual_mov_b32 v4, s0 :: v_dual_mov_b32 v5, s1
	s_sleep 1
	global_store_b64 v[8:9], v[6:7], off
	global_wb scope:SCOPE_SYS
	s_wait_storecnt 0x0
	s_wait_xcnt 0x0
	global_atomic_cmpswap_b64 v[4:5], v1, v[4:7], s[2:3] offset:24 th:TH_ATOMIC_RETURN scope:SCOPE_SYS
	s_wait_loadcnt 0x0
	v_cmp_eq_u64_e32 vcc_lo, v[4:5], v[6:7]
	v_mov_b64_e32 v[6:7], v[4:5]
	s_or_b32 s4, vcc_lo, s4
	s_delay_alu instid0(SALU_CYCLE_1)
	s_and_not1_b32 exec_lo, exec_lo, s4
	s_cbranch_execnz .LBB5_34
.LBB5_35:
	s_or_b32 exec_lo, exec_lo, s6
	s_get_pc_i64 s[4:5]
	s_add_nc_u64 s[4:5], s[4:5], .str@rel64+4
	s_delay_alu instid0(SALU_CYCLE_1)
	s_cmp_lg_u64 s[4:5], 0
	s_cbranch_scc0 .LBB5_114
; %bb.36:
	v_mov_b64_e32 v[10:11], 0x100000002
	s_wait_loadcnt 0x0
	v_dual_mov_b32 v9, 0 :: v_dual_bitop2_b32 v28, 2, v2 bitop3:0x40
	v_dual_mov_b32 v5, v3 :: v_dual_bitop2_b32 v4, -3, v2 bitop3:0x40
	s_mov_b64 s[6:7], 42
	s_branch .LBB5_38
.LBB5_37:                               ;   in Loop: Header=BB5_38 Depth=1
	s_or_b32 exec_lo, exec_lo, s12
	s_sub_nc_u64 s[6:7], s[6:7], s[8:9]
	s_add_nc_u64 s[4:5], s[4:5], s[8:9]
	s_cmp_lg_u64 s[6:7], 0
	s_cbranch_scc0 .LBB5_113
.LBB5_38:                               ; =>This Loop Header: Depth=1
                                        ;     Child Loop BB5_41 Depth 2
                                        ;     Child Loop BB5_48 Depth 2
	;; [unrolled: 1-line block ×11, first 2 shown]
	v_min_u64 v[6:7], s[6:7], 56
	v_cmp_gt_u64_e64 s0, s[6:7], 7
	s_and_b32 vcc_lo, exec_lo, s0
	v_readfirstlane_b32 s8, v6
	v_readfirstlane_b32 s9, v7
	s_cbranch_vccnz .LBB5_43
; %bb.39:                               ;   in Loop: Header=BB5_38 Depth=1
	v_mov_b64_e32 v[6:7], 0
	s_cmp_eq_u64 s[6:7], 0
	s_cbranch_scc1 .LBB5_42
; %bb.40:                               ;   in Loop: Header=BB5_38 Depth=1
	s_mov_b64 s[0:1], 0
	s_mov_b64 s[10:11], 0
.LBB5_41:                               ;   Parent Loop BB5_38 Depth=1
                                        ; =>  This Inner Loop Header: Depth=2
	s_wait_xcnt 0x0
	s_add_nc_u64 s[12:13], s[4:5], s[10:11]
	s_add_nc_u64 s[10:11], s[10:11], 1
	global_load_u8 v1, v9, s[12:13]
	s_cmp_lg_u32 s8, s10
	s_wait_loadcnt 0x0
	v_and_b32_e32 v8, 0xffff, v1
	s_delay_alu instid0(VALU_DEP_1) | instskip(SKIP_1) | instid1(VALU_DEP_1)
	v_lshlrev_b64_e32 v[12:13], s0, v[8:9]
	s_add_nc_u64 s[0:1], s[0:1], 8
	v_or_b32_e32 v6, v12, v6
	s_delay_alu instid0(VALU_DEP_2)
	v_or_b32_e32 v7, v13, v7
	s_cbranch_scc1 .LBB5_41
.LBB5_42:                               ;   in Loop: Header=BB5_38 Depth=1
	s_mov_b64 s[10:11], s[4:5]
	s_mov_b32 s14, 0
	s_cbranch_execz .LBB5_44
	s_branch .LBB5_45
.LBB5_43:                               ;   in Loop: Header=BB5_38 Depth=1
	s_add_nc_u64 s[10:11], s[4:5], 8
	s_mov_b32 s14, 0
.LBB5_44:                               ;   in Loop: Header=BB5_38 Depth=1
	global_load_b64 v[6:7], v9, s[4:5]
	s_add_co_i32 s14, s8, -8
.LBB5_45:                               ;   in Loop: Header=BB5_38 Depth=1
	s_delay_alu instid0(SALU_CYCLE_1)
	s_cmp_gt_u32 s14, 7
	s_cbranch_scc1 .LBB5_50
; %bb.46:                               ;   in Loop: Header=BB5_38 Depth=1
	v_mov_b64_e32 v[12:13], 0
	s_cmp_eq_u32 s14, 0
	s_cbranch_scc1 .LBB5_49
; %bb.47:                               ;   in Loop: Header=BB5_38 Depth=1
	s_mov_b64 s[0:1], 0
	s_wait_xcnt 0x0
	s_mov_b64 s[12:13], 0
.LBB5_48:                               ;   Parent Loop BB5_38 Depth=1
                                        ; =>  This Inner Loop Header: Depth=2
	s_wait_xcnt 0x0
	s_add_nc_u64 s[16:17], s[10:11], s[12:13]
	s_add_nc_u64 s[12:13], s[12:13], 1
	global_load_u8 v1, v9, s[16:17]
	s_cmp_lg_u32 s14, s12
	s_wait_loadcnt 0x0
	v_and_b32_e32 v8, 0xffff, v1
	s_delay_alu instid0(VALU_DEP_1) | instskip(SKIP_1) | instid1(VALU_DEP_1)
	v_lshlrev_b64_e32 v[14:15], s0, v[8:9]
	s_add_nc_u64 s[0:1], s[0:1], 8
	v_or_b32_e32 v12, v14, v12
	s_delay_alu instid0(VALU_DEP_2)
	v_or_b32_e32 v13, v15, v13
	s_cbranch_scc1 .LBB5_48
.LBB5_49:                               ;   in Loop: Header=BB5_38 Depth=1
	s_wait_xcnt 0x0
	s_mov_b64 s[0:1], s[10:11]
	s_mov_b32 s15, 0
	s_cbranch_execz .LBB5_51
	s_branch .LBB5_52
.LBB5_50:                               ;   in Loop: Header=BB5_38 Depth=1
	s_add_nc_u64 s[0:1], s[10:11], 8
	s_wait_xcnt 0x0
                                        ; implicit-def: $vgpr12_vgpr13
	s_mov_b32 s15, 0
.LBB5_51:                               ;   in Loop: Header=BB5_38 Depth=1
	global_load_b64 v[12:13], v9, s[10:11]
	s_add_co_i32 s15, s14, -8
.LBB5_52:                               ;   in Loop: Header=BB5_38 Depth=1
	s_delay_alu instid0(SALU_CYCLE_1)
	s_cmp_gt_u32 s15, 7
	s_cbranch_scc1 .LBB5_57
; %bb.53:                               ;   in Loop: Header=BB5_38 Depth=1
	v_mov_b64_e32 v[14:15], 0
	s_cmp_eq_u32 s15, 0
	s_cbranch_scc1 .LBB5_56
; %bb.54:                               ;   in Loop: Header=BB5_38 Depth=1
	s_wait_xcnt 0x0
	s_mov_b64 s[10:11], 0
	s_mov_b64 s[12:13], 0
.LBB5_55:                               ;   Parent Loop BB5_38 Depth=1
                                        ; =>  This Inner Loop Header: Depth=2
	s_wait_xcnt 0x0
	s_add_nc_u64 s[16:17], s[0:1], s[12:13]
	s_add_nc_u64 s[12:13], s[12:13], 1
	global_load_u8 v1, v9, s[16:17]
	s_cmp_lg_u32 s15, s12
	s_wait_loadcnt 0x0
	v_and_b32_e32 v8, 0xffff, v1
	s_delay_alu instid0(VALU_DEP_1) | instskip(SKIP_1) | instid1(VALU_DEP_1)
	v_lshlrev_b64_e32 v[16:17], s10, v[8:9]
	s_add_nc_u64 s[10:11], s[10:11], 8
	v_or_b32_e32 v14, v16, v14
	s_delay_alu instid0(VALU_DEP_2)
	v_or_b32_e32 v15, v17, v15
	s_cbranch_scc1 .LBB5_55
.LBB5_56:                               ;   in Loop: Header=BB5_38 Depth=1
	s_wait_xcnt 0x0
	s_mov_b64 s[10:11], s[0:1]
	s_mov_b32 s14, 0
	s_cbranch_execz .LBB5_58
	s_branch .LBB5_59
.LBB5_57:                               ;   in Loop: Header=BB5_38 Depth=1
	s_wait_xcnt 0x0
	s_add_nc_u64 s[10:11], s[0:1], 8
	s_mov_b32 s14, 0
.LBB5_58:                               ;   in Loop: Header=BB5_38 Depth=1
	global_load_b64 v[14:15], v9, s[0:1]
	s_add_co_i32 s14, s15, -8
.LBB5_59:                               ;   in Loop: Header=BB5_38 Depth=1
	s_delay_alu instid0(SALU_CYCLE_1)
	s_cmp_gt_u32 s14, 7
	s_cbranch_scc1 .LBB5_64
; %bb.60:                               ;   in Loop: Header=BB5_38 Depth=1
	v_mov_b64_e32 v[16:17], 0
	s_cmp_eq_u32 s14, 0
	s_cbranch_scc1 .LBB5_63
; %bb.61:                               ;   in Loop: Header=BB5_38 Depth=1
	s_wait_xcnt 0x0
	s_mov_b64 s[0:1], 0
	s_mov_b64 s[12:13], 0
.LBB5_62:                               ;   Parent Loop BB5_38 Depth=1
                                        ; =>  This Inner Loop Header: Depth=2
	s_wait_xcnt 0x0
	s_add_nc_u64 s[16:17], s[10:11], s[12:13]
	s_add_nc_u64 s[12:13], s[12:13], 1
	global_load_u8 v1, v9, s[16:17]
	s_cmp_lg_u32 s14, s12
	s_wait_loadcnt 0x0
	v_and_b32_e32 v8, 0xffff, v1
	s_delay_alu instid0(VALU_DEP_1) | instskip(SKIP_1) | instid1(VALU_DEP_1)
	v_lshlrev_b64_e32 v[18:19], s0, v[8:9]
	s_add_nc_u64 s[0:1], s[0:1], 8
	v_or_b32_e32 v16, v18, v16
	s_delay_alu instid0(VALU_DEP_2)
	v_or_b32_e32 v17, v19, v17
	s_cbranch_scc1 .LBB5_62
.LBB5_63:                               ;   in Loop: Header=BB5_38 Depth=1
	s_wait_xcnt 0x0
	s_mov_b64 s[0:1], s[10:11]
	s_mov_b32 s15, 0
	s_cbranch_execz .LBB5_65
	s_branch .LBB5_66
.LBB5_64:                               ;   in Loop: Header=BB5_38 Depth=1
	s_wait_xcnt 0x0
	s_add_nc_u64 s[0:1], s[10:11], 8
                                        ; implicit-def: $vgpr16_vgpr17
	s_mov_b32 s15, 0
.LBB5_65:                               ;   in Loop: Header=BB5_38 Depth=1
	global_load_b64 v[16:17], v9, s[10:11]
	s_add_co_i32 s15, s14, -8
.LBB5_66:                               ;   in Loop: Header=BB5_38 Depth=1
	s_delay_alu instid0(SALU_CYCLE_1)
	s_cmp_gt_u32 s15, 7
	s_cbranch_scc1 .LBB5_71
; %bb.67:                               ;   in Loop: Header=BB5_38 Depth=1
	v_mov_b64_e32 v[18:19], 0
	s_cmp_eq_u32 s15, 0
	s_cbranch_scc1 .LBB5_70
; %bb.68:                               ;   in Loop: Header=BB5_38 Depth=1
	s_wait_xcnt 0x0
	s_mov_b64 s[10:11], 0
	s_mov_b64 s[12:13], 0
.LBB5_69:                               ;   Parent Loop BB5_38 Depth=1
                                        ; =>  This Inner Loop Header: Depth=2
	s_wait_xcnt 0x0
	s_add_nc_u64 s[16:17], s[0:1], s[12:13]
	s_add_nc_u64 s[12:13], s[12:13], 1
	global_load_u8 v1, v9, s[16:17]
	s_cmp_lg_u32 s15, s12
	s_wait_loadcnt 0x0
	v_and_b32_e32 v8, 0xffff, v1
	s_delay_alu instid0(VALU_DEP_1) | instskip(SKIP_1) | instid1(VALU_DEP_1)
	v_lshlrev_b64_e32 v[20:21], s10, v[8:9]
	s_add_nc_u64 s[10:11], s[10:11], 8
	v_or_b32_e32 v18, v20, v18
	s_delay_alu instid0(VALU_DEP_2)
	v_or_b32_e32 v19, v21, v19
	s_cbranch_scc1 .LBB5_69
.LBB5_70:                               ;   in Loop: Header=BB5_38 Depth=1
	s_wait_xcnt 0x0
	s_mov_b64 s[10:11], s[0:1]
	s_mov_b32 s14, 0
	s_cbranch_execz .LBB5_72
	s_branch .LBB5_73
.LBB5_71:                               ;   in Loop: Header=BB5_38 Depth=1
	s_wait_xcnt 0x0
	s_add_nc_u64 s[10:11], s[0:1], 8
	s_mov_b32 s14, 0
.LBB5_72:                               ;   in Loop: Header=BB5_38 Depth=1
	global_load_b64 v[18:19], v9, s[0:1]
	s_add_co_i32 s14, s15, -8
.LBB5_73:                               ;   in Loop: Header=BB5_38 Depth=1
	s_delay_alu instid0(SALU_CYCLE_1)
	s_cmp_gt_u32 s14, 7
	s_cbranch_scc1 .LBB5_78
; %bb.74:                               ;   in Loop: Header=BB5_38 Depth=1
	v_mov_b64_e32 v[20:21], 0
	s_cmp_eq_u32 s14, 0
	s_cbranch_scc1 .LBB5_77
; %bb.75:                               ;   in Loop: Header=BB5_38 Depth=1
	s_wait_xcnt 0x0
	s_mov_b64 s[0:1], 0
	s_mov_b64 s[12:13], 0
.LBB5_76:                               ;   Parent Loop BB5_38 Depth=1
                                        ; =>  This Inner Loop Header: Depth=2
	s_wait_xcnt 0x0
	s_add_nc_u64 s[16:17], s[10:11], s[12:13]
	s_add_nc_u64 s[12:13], s[12:13], 1
	global_load_u8 v1, v9, s[16:17]
	s_cmp_lg_u32 s14, s12
	s_wait_loadcnt 0x0
	v_and_b32_e32 v8, 0xffff, v1
	s_delay_alu instid0(VALU_DEP_1) | instskip(SKIP_1) | instid1(VALU_DEP_1)
	v_lshlrev_b64_e32 v[22:23], s0, v[8:9]
	s_add_nc_u64 s[0:1], s[0:1], 8
	v_or_b32_e32 v20, v22, v20
	s_delay_alu instid0(VALU_DEP_2)
	v_or_b32_e32 v21, v23, v21
	s_cbranch_scc1 .LBB5_76
.LBB5_77:                               ;   in Loop: Header=BB5_38 Depth=1
	s_wait_xcnt 0x0
	s_mov_b64 s[0:1], s[10:11]
	s_mov_b32 s15, 0
	s_cbranch_execz .LBB5_79
	s_branch .LBB5_80
.LBB5_78:                               ;   in Loop: Header=BB5_38 Depth=1
	s_wait_xcnt 0x0
	s_add_nc_u64 s[0:1], s[10:11], 8
                                        ; implicit-def: $vgpr20_vgpr21
	s_mov_b32 s15, 0
.LBB5_79:                               ;   in Loop: Header=BB5_38 Depth=1
	global_load_b64 v[20:21], v9, s[10:11]
	s_add_co_i32 s15, s14, -8
.LBB5_80:                               ;   in Loop: Header=BB5_38 Depth=1
	s_delay_alu instid0(SALU_CYCLE_1)
	s_cmp_gt_u32 s15, 7
	s_cbranch_scc1 .LBB5_85
; %bb.81:                               ;   in Loop: Header=BB5_38 Depth=1
	v_mov_b64_e32 v[22:23], 0
	s_cmp_eq_u32 s15, 0
	s_cbranch_scc1 .LBB5_84
; %bb.82:                               ;   in Loop: Header=BB5_38 Depth=1
	s_wait_xcnt 0x0
	s_mov_b64 s[10:11], 0
	s_mov_b64 s[12:13], s[0:1]
.LBB5_83:                               ;   Parent Loop BB5_38 Depth=1
                                        ; =>  This Inner Loop Header: Depth=2
	global_load_u8 v1, v9, s[12:13]
	s_add_co_i32 s15, s15, -1
	s_wait_xcnt 0x0
	s_add_nc_u64 s[12:13], s[12:13], 1
	s_cmp_lg_u32 s15, 0
	s_wait_loadcnt 0x0
	v_and_b32_e32 v8, 0xffff, v1
	s_delay_alu instid0(VALU_DEP_1) | instskip(SKIP_1) | instid1(VALU_DEP_1)
	v_lshlrev_b64_e32 v[24:25], s10, v[8:9]
	s_add_nc_u64 s[10:11], s[10:11], 8
	v_or_b32_e32 v22, v24, v22
	s_delay_alu instid0(VALU_DEP_2)
	v_or_b32_e32 v23, v25, v23
	s_cbranch_scc1 .LBB5_83
.LBB5_84:                               ;   in Loop: Header=BB5_38 Depth=1
	s_wait_xcnt 0x0
	s_cbranch_execz .LBB5_86
	s_branch .LBB5_87
.LBB5_85:                               ;   in Loop: Header=BB5_38 Depth=1
	s_wait_xcnt 0x0
.LBB5_86:                               ;   in Loop: Header=BB5_38 Depth=1
	global_load_b64 v[22:23], v9, s[0:1]
.LBB5_87:                               ;   in Loop: Header=BB5_38 Depth=1
	s_wait_xcnt 0x0
	v_readfirstlane_b32 s0, v34
	v_mov_b64_e32 v[30:31], 0
	s_delay_alu instid0(VALU_DEP_2)
	v_cmp_eq_u32_e64 s0, s0, v34
	s_and_saveexec_b32 s1, s0
	s_cbranch_execz .LBB5_93
; %bb.88:                               ;   in Loop: Header=BB5_38 Depth=1
	global_load_b64 v[26:27], v9, s[2:3] offset:24 scope:SCOPE_SYS
	s_wait_loadcnt 0x0
	global_inv scope:SCOPE_SYS
	s_clause 0x1
	global_load_b64 v[24:25], v9, s[2:3] offset:40
	global_load_b64 v[30:31], v9, s[2:3]
	s_mov_b32 s10, exec_lo
	s_wait_loadcnt 0x1
	v_and_b32_e32 v24, v24, v26
	v_and_b32_e32 v25, v25, v27
	s_delay_alu instid0(VALU_DEP_1) | instskip(SKIP_1) | instid1(VALU_DEP_1)
	v_mul_u64_e32 v[24:25], 24, v[24:25]
	s_wait_loadcnt 0x0
	v_add_nc_u64_e32 v[24:25], v[30:31], v[24:25]
	global_load_b64 v[24:25], v[24:25], off scope:SCOPE_SYS
	s_wait_xcnt 0x0
	s_wait_loadcnt 0x0
	global_atomic_cmpswap_b64 v[30:31], v9, v[24:27], s[2:3] offset:24 th:TH_ATOMIC_RETURN scope:SCOPE_SYS
	s_wait_loadcnt 0x0
	global_inv scope:SCOPE_SYS
	s_wait_xcnt 0x0
	v_cmpx_ne_u64_e64 v[30:31], v[26:27]
	s_cbranch_execz .LBB5_92
; %bb.89:                               ;   in Loop: Header=BB5_38 Depth=1
	s_mov_b32 s11, 0
.LBB5_90:                               ;   Parent Loop BB5_38 Depth=1
                                        ; =>  This Inner Loop Header: Depth=2
	s_sleep 1
	s_clause 0x1
	global_load_b64 v[24:25], v9, s[2:3] offset:40
	global_load_b64 v[32:33], v9, s[2:3]
	v_mov_b64_e32 v[26:27], v[30:31]
	s_wait_loadcnt 0x1
	s_delay_alu instid0(VALU_DEP_1) | instskip(SKIP_1) | instid1(VALU_DEP_1)
	v_and_b32_e32 v1, v24, v26
	s_wait_loadcnt 0x0
	v_mad_nc_u64_u32 v[30:31], v1, 24, v[32:33]
	s_delay_alu instid0(VALU_DEP_3) | instskip(NEXT) | instid1(VALU_DEP_1)
	v_and_b32_e32 v1, v25, v27
	v_mad_u32 v31, v1, 24, v31
	global_load_b64 v[24:25], v[30:31], off scope:SCOPE_SYS
	s_wait_xcnt 0x0
	s_wait_loadcnt 0x0
	global_atomic_cmpswap_b64 v[30:31], v9, v[24:27], s[2:3] offset:24 th:TH_ATOMIC_RETURN scope:SCOPE_SYS
	s_wait_loadcnt 0x0
	global_inv scope:SCOPE_SYS
	v_cmp_eq_u64_e32 vcc_lo, v[30:31], v[26:27]
	s_or_b32 s11, vcc_lo, s11
	s_wait_xcnt 0x0
	s_and_not1_b32 exec_lo, exec_lo, s11
	s_cbranch_execnz .LBB5_90
; %bb.91:                               ;   in Loop: Header=BB5_38 Depth=1
	s_or_b32 exec_lo, exec_lo, s11
.LBB5_92:                               ;   in Loop: Header=BB5_38 Depth=1
	s_delay_alu instid0(SALU_CYCLE_1)
	s_or_b32 exec_lo, exec_lo, s10
.LBB5_93:                               ;   in Loop: Header=BB5_38 Depth=1
	s_delay_alu instid0(SALU_CYCLE_1)
	s_or_b32 exec_lo, exec_lo, s1
	s_clause 0x1
	global_load_b64 v[32:33], v9, s[2:3] offset:40
	global_load_b128 v[24:27], v9, s[2:3]
	v_readfirstlane_b32 s10, v30
	v_readfirstlane_b32 s11, v31
	s_mov_b32 s1, exec_lo
	s_wait_loadcnt 0x1
	v_and_b32_e32 v32, s10, v32
	v_and_b32_e32 v33, s11, v33
	s_delay_alu instid0(VALU_DEP_1) | instskip(SKIP_1) | instid1(VALU_DEP_1)
	v_mul_u64_e32 v[30:31], 24, v[32:33]
	s_wait_loadcnt 0x0
	v_add_nc_u64_e32 v[30:31], v[24:25], v[30:31]
	s_wait_xcnt 0x0
	s_and_saveexec_b32 s12, s0
	s_cbranch_execz .LBB5_95
; %bb.94:                               ;   in Loop: Header=BB5_38 Depth=1
	v_mov_b32_e32 v8, s1
	global_store_b128 v[30:31], v[8:11], off offset:8
.LBB5_95:                               ;   in Loop: Header=BB5_38 Depth=1
	s_wait_xcnt 0x0
	s_or_b32 exec_lo, exec_lo, s12
	v_cmp_lt_u64_e64 vcc_lo, s[6:7], 57
	v_lshlrev_b64_e32 v[32:33], 12, v[32:33]
	v_and_b32_e32 v4, 0xffffff1f, v4
	s_lshl_b32 s1, s8, 2
	s_delay_alu instid0(SALU_CYCLE_1) | instskip(SKIP_1) | instid1(VALU_DEP_3)
	s_add_co_i32 s1, s1, 28
	v_cndmask_b32_e32 v1, 0, v28, vcc_lo
	v_add_nc_u64_e32 v[26:27], v[26:27], v[32:33]
	s_delay_alu instid0(VALU_DEP_2) | instskip(NEXT) | instid1(VALU_DEP_2)
	v_or_b32_e32 v1, v4, v1
	v_readfirstlane_b32 s12, v26
	s_delay_alu instid0(VALU_DEP_3) | instskip(NEXT) | instid1(VALU_DEP_3)
	v_readfirstlane_b32 s13, v27
	v_and_or_b32 v4, 0x1e0, s1, v1
	s_clause 0x3
	global_store_b128 v0, v[4:7], s[12:13]
	global_store_b128 v0, v[12:15], s[12:13] offset:16
	global_store_b128 v0, v[16:19], s[12:13] offset:32
	;; [unrolled: 1-line block ×3, first 2 shown]
	s_wait_xcnt 0x0
	s_and_saveexec_b32 s1, s0
	s_cbranch_execz .LBB5_103
; %bb.96:                               ;   in Loop: Header=BB5_38 Depth=1
	s_clause 0x1
	global_load_b64 v[16:17], v9, s[2:3] offset:32 scope:SCOPE_SYS
	global_load_b64 v[4:5], v9, s[2:3] offset:40
	s_mov_b32 s12, exec_lo
	v_dual_mov_b32 v14, s10 :: v_dual_mov_b32 v15, s11
	s_wait_loadcnt 0x0
	v_and_b32_e32 v5, s11, v5
	v_and_b32_e32 v4, s10, v4
	s_delay_alu instid0(VALU_DEP_1) | instskip(NEXT) | instid1(VALU_DEP_1)
	v_mul_u64_e32 v[4:5], 24, v[4:5]
	v_add_nc_u64_e32 v[12:13], v[24:25], v[4:5]
	global_store_b64 v[12:13], v[16:17], off
	global_wb scope:SCOPE_SYS
	s_wait_storecnt 0x0
	s_wait_xcnt 0x0
	global_atomic_cmpswap_b64 v[6:7], v9, v[14:17], s[2:3] offset:32 th:TH_ATOMIC_RETURN scope:SCOPE_SYS
	s_wait_loadcnt 0x0
	v_cmpx_ne_u64_e64 v[6:7], v[16:17]
	s_cbranch_execz .LBB5_99
; %bb.97:                               ;   in Loop: Header=BB5_38 Depth=1
	s_mov_b32 s13, 0
.LBB5_98:                               ;   Parent Loop BB5_38 Depth=1
                                        ; =>  This Inner Loop Header: Depth=2
	v_dual_mov_b32 v4, s10 :: v_dual_mov_b32 v5, s11
	s_sleep 1
	global_store_b64 v[12:13], v[6:7], off
	global_wb scope:SCOPE_SYS
	s_wait_storecnt 0x0
	s_wait_xcnt 0x0
	global_atomic_cmpswap_b64 v[4:5], v9, v[4:7], s[2:3] offset:32 th:TH_ATOMIC_RETURN scope:SCOPE_SYS
	s_wait_loadcnt 0x0
	v_cmp_eq_u64_e32 vcc_lo, v[4:5], v[6:7]
	v_mov_b64_e32 v[6:7], v[4:5]
	s_or_b32 s13, vcc_lo, s13
	s_delay_alu instid0(SALU_CYCLE_1)
	s_and_not1_b32 exec_lo, exec_lo, s13
	s_cbranch_execnz .LBB5_98
.LBB5_99:                               ;   in Loop: Header=BB5_38 Depth=1
	s_or_b32 exec_lo, exec_lo, s12
	global_load_b64 v[4:5], v9, s[2:3] offset:16
	s_mov_b32 s13, exec_lo
	s_mov_b32 s12, exec_lo
	v_mbcnt_lo_u32_b32 v1, s13, 0
	s_wait_xcnt 0x0
	s_delay_alu instid0(VALU_DEP_1)
	v_cmpx_eq_u32_e32 0, v1
	s_cbranch_execz .LBB5_101
; %bb.100:                              ;   in Loop: Header=BB5_38 Depth=1
	s_bcnt1_i32_b32 s13, s13
	s_delay_alu instid0(SALU_CYCLE_1)
	v_mov_b32_e32 v8, s13
	global_wb scope:SCOPE_SYS
	s_wait_loadcnt 0x0
	s_wait_storecnt 0x0
	global_atomic_add_u64 v[4:5], v[8:9], off offset:8 scope:SCOPE_SYS
.LBB5_101:                              ;   in Loop: Header=BB5_38 Depth=1
	s_wait_xcnt 0x0
	s_or_b32 exec_lo, exec_lo, s12
	s_wait_loadcnt 0x0
	global_load_b64 v[6:7], v[4:5], off offset:16
	s_wait_loadcnt 0x0
	v_cmp_eq_u64_e32 vcc_lo, 0, v[6:7]
	s_cbranch_vccnz .LBB5_103
; %bb.102:                              ;   in Loop: Header=BB5_38 Depth=1
	global_load_b32 v8, v[4:5], off offset:24
	s_wait_loadcnt 0x0
	v_readfirstlane_b32 s12, v8
	global_wb scope:SCOPE_SYS
	s_wait_storecnt 0x0
	s_wait_xcnt 0x0
	global_store_b64 v[6:7], v[8:9], off scope:SCOPE_SYS
	s_and_b32 m0, s12, 0xffffff
	s_sendmsg sendmsg(MSG_INTERRUPT)
.LBB5_103:                              ;   in Loop: Header=BB5_38 Depth=1
	s_wait_xcnt 0x0
	s_or_b32 exec_lo, exec_lo, s1
	v_mov_b32_e32 v1, v9
	s_delay_alu instid0(VALU_DEP_1)
	v_add_nc_u64_e32 v[4:5], v[26:27], v[0:1]
	s_branch .LBB5_107
.LBB5_104:                              ;   in Loop: Header=BB5_107 Depth=2
	s_wait_xcnt 0x0
	s_or_b32 exec_lo, exec_lo, s1
	s_delay_alu instid0(VALU_DEP_1)
	v_readfirstlane_b32 s1, v1
	s_cmp_eq_u32 s1, 0
	s_cbranch_scc1 .LBB5_106
; %bb.105:                              ;   in Loop: Header=BB5_107 Depth=2
	s_sleep 1
	s_cbranch_execnz .LBB5_107
	s_branch .LBB5_109
.LBB5_106:                              ;   in Loop: Header=BB5_38 Depth=1
	s_branch .LBB5_109
.LBB5_107:                              ;   Parent Loop BB5_38 Depth=1
                                        ; =>  This Inner Loop Header: Depth=2
	v_mov_b32_e32 v1, 1
	s_and_saveexec_b32 s1, s0
	s_cbranch_execz .LBB5_104
; %bb.108:                              ;   in Loop: Header=BB5_107 Depth=2
	global_load_b32 v1, v[30:31], off offset:20 scope:SCOPE_SYS
	s_wait_loadcnt 0x0
	global_inv scope:SCOPE_SYS
	v_and_b32_e32 v1, 1, v1
	s_branch .LBB5_104
.LBB5_109:                              ;   in Loop: Header=BB5_38 Depth=1
	global_load_b64 v[4:5], v[4:5], off
	s_wait_xcnt 0x0
	s_and_saveexec_b32 s12, s0
	s_cbranch_execz .LBB5_37
; %bb.110:                              ;   in Loop: Header=BB5_38 Depth=1
	s_clause 0x2
	global_load_b64 v[6:7], v9, s[2:3] offset:40
	global_load_b64 v[16:17], v9, s[2:3] offset:24 scope:SCOPE_SYS
	global_load_b64 v[12:13], v9, s[2:3]
	s_wait_loadcnt 0x2
	v_readfirstlane_b32 s14, v6
	v_readfirstlane_b32 s15, v7
	s_add_nc_u64 s[0:1], s[14:15], 1
	s_delay_alu instid0(SALU_CYCLE_1) | instskip(NEXT) | instid1(SALU_CYCLE_1)
	s_add_nc_u64 s[10:11], s[0:1], s[10:11]
	s_cmp_eq_u64 s[10:11], 0
	s_cselect_b32 s1, s1, s11
	s_cselect_b32 s0, s0, s10
	s_delay_alu instid0(SALU_CYCLE_1) | instskip(SKIP_1) | instid1(SALU_CYCLE_1)
	v_dual_mov_b32 v15, s1 :: v_dual_mov_b32 v14, s0
	s_and_b64 s[10:11], s[0:1], s[14:15]
	s_mul_u64 s[10:11], s[10:11], 24
	s_wait_loadcnt 0x0
	v_add_nc_u64_e32 v[6:7], s[10:11], v[12:13]
	global_store_b64 v[6:7], v[16:17], off
	global_wb scope:SCOPE_SYS
	s_wait_storecnt 0x0
	s_wait_xcnt 0x0
	global_atomic_cmpswap_b64 v[14:15], v9, v[14:17], s[2:3] offset:24 th:TH_ATOMIC_RETURN scope:SCOPE_SYS
	s_wait_loadcnt 0x0
	v_cmp_ne_u64_e32 vcc_lo, v[14:15], v[16:17]
	s_and_b32 exec_lo, exec_lo, vcc_lo
	s_cbranch_execz .LBB5_37
; %bb.111:                              ;   in Loop: Header=BB5_38 Depth=1
	s_mov_b32 s10, 0
.LBB5_112:                              ;   Parent Loop BB5_38 Depth=1
                                        ; =>  This Inner Loop Header: Depth=2
	v_dual_mov_b32 v12, s0 :: v_dual_mov_b32 v13, s1
	s_sleep 1
	global_store_b64 v[6:7], v[14:15], off
	global_wb scope:SCOPE_SYS
	s_wait_storecnt 0x0
	s_wait_xcnt 0x0
	global_atomic_cmpswap_b64 v[12:13], v9, v[12:15], s[2:3] offset:24 th:TH_ATOMIC_RETURN scope:SCOPE_SYS
	s_wait_loadcnt 0x0
	v_cmp_eq_u64_e32 vcc_lo, v[12:13], v[14:15]
	v_mov_b64_e32 v[14:15], v[12:13]
	s_or_b32 s10, vcc_lo, s10
	s_delay_alu instid0(SALU_CYCLE_1)
	s_and_not1_b32 exec_lo, exec_lo, s10
	s_cbranch_execnz .LBB5_112
	s_branch .LBB5_37
.LBB5_113:
	s_branch .LBB5_142
.LBB5_114:
                                        ; implicit-def: $vgpr4_vgpr5
	s_cbranch_execz .LBB5_142
; %bb.115:
	v_readfirstlane_b32 s0, v34
	s_wait_loadcnt 0x0
	v_mov_b64_e32 v[4:5], 0
	s_delay_alu instid0(VALU_DEP_2)
	v_cmp_eq_u32_e64 s0, s0, v34
	s_and_saveexec_b32 s1, s0
	s_cbranch_execz .LBB5_121
; %bb.116:
	v_mov_b32_e32 v1, 0
	s_mov_b32 s4, exec_lo
	global_load_b64 v[6:7], v1, s[2:3] offset:24 scope:SCOPE_SYS
	s_wait_loadcnt 0x0
	global_inv scope:SCOPE_SYS
	s_clause 0x1
	global_load_b64 v[4:5], v1, s[2:3] offset:40
	global_load_b64 v[8:9], v1, s[2:3]
	s_wait_loadcnt 0x1
	v_and_b32_e32 v4, v4, v6
	v_and_b32_e32 v5, v5, v7
	s_delay_alu instid0(VALU_DEP_1) | instskip(SKIP_1) | instid1(VALU_DEP_1)
	v_mul_u64_e32 v[4:5], 24, v[4:5]
	s_wait_loadcnt 0x0
	v_add_nc_u64_e32 v[4:5], v[8:9], v[4:5]
	global_load_b64 v[4:5], v[4:5], off scope:SCOPE_SYS
	s_wait_xcnt 0x0
	s_wait_loadcnt 0x0
	global_atomic_cmpswap_b64 v[4:5], v1, v[4:7], s[2:3] offset:24 th:TH_ATOMIC_RETURN scope:SCOPE_SYS
	s_wait_loadcnt 0x0
	global_inv scope:SCOPE_SYS
	s_wait_xcnt 0x0
	v_cmpx_ne_u64_e64 v[4:5], v[6:7]
	s_cbranch_execz .LBB5_120
; %bb.117:
	s_mov_b32 s5, 0
.LBB5_118:                              ; =>This Inner Loop Header: Depth=1
	s_sleep 1
	s_clause 0x1
	global_load_b64 v[8:9], v1, s[2:3] offset:40
	global_load_b64 v[10:11], v1, s[2:3]
	v_mov_b64_e32 v[6:7], v[4:5]
	s_wait_loadcnt 0x1
	s_delay_alu instid0(VALU_DEP_1) | instskip(NEXT) | instid1(VALU_DEP_2)
	v_and_b32_e32 v4, v8, v6
	v_and_b32_e32 v8, v9, v7
	s_wait_loadcnt 0x0
	s_delay_alu instid0(VALU_DEP_2) | instskip(NEXT) | instid1(VALU_DEP_1)
	v_mad_nc_u64_u32 v[4:5], v4, 24, v[10:11]
	v_mad_u32 v5, v8, 24, v5
	global_load_b64 v[4:5], v[4:5], off scope:SCOPE_SYS
	s_wait_xcnt 0x0
	s_wait_loadcnt 0x0
	global_atomic_cmpswap_b64 v[4:5], v1, v[4:7], s[2:3] offset:24 th:TH_ATOMIC_RETURN scope:SCOPE_SYS
	s_wait_loadcnt 0x0
	global_inv scope:SCOPE_SYS
	v_cmp_eq_u64_e32 vcc_lo, v[4:5], v[6:7]
	s_or_b32 s5, vcc_lo, s5
	s_wait_xcnt 0x0
	s_and_not1_b32 exec_lo, exec_lo, s5
	s_cbranch_execnz .LBB5_118
; %bb.119:
	s_or_b32 exec_lo, exec_lo, s5
.LBB5_120:
	s_delay_alu instid0(SALU_CYCLE_1)
	s_or_b32 exec_lo, exec_lo, s4
.LBB5_121:
	s_delay_alu instid0(SALU_CYCLE_1)
	s_or_b32 exec_lo, exec_lo, s1
	v_readfirstlane_b32 s4, v4
	v_mov_b32_e32 v1, 0
	v_readfirstlane_b32 s5, v5
	s_mov_b32 s1, exec_lo
	s_clause 0x1
	global_load_b64 v[10:11], v1, s[2:3] offset:40
	global_load_b128 v[6:9], v1, s[2:3]
	s_wait_loadcnt 0x1
	v_and_b32_e32 v4, s4, v10
	v_and_b32_e32 v5, s5, v11
	s_delay_alu instid0(VALU_DEP_1) | instskip(SKIP_1) | instid1(VALU_DEP_1)
	v_mul_u64_e32 v[10:11], 24, v[4:5]
	s_wait_loadcnt 0x0
	v_add_nc_u64_e32 v[10:11], v[6:7], v[10:11]
	s_wait_xcnt 0x0
	s_and_saveexec_b32 s6, s0
	s_cbranch_execz .LBB5_123
; %bb.122:
	v_mov_b64_e32 v[14:15], 0x100000002
	v_dual_mov_b32 v12, s1 :: v_dual_mov_b32 v13, v1
	global_store_b128 v[10:11], v[12:15], off offset:8
.LBB5_123:
	s_wait_xcnt 0x0
	s_or_b32 exec_lo, exec_lo, s6
	v_lshlrev_b64_e32 v[4:5], 12, v[4:5]
	s_mov_b32 s8, 0
	v_and_or_b32 v2, 0xffffff1f, v2, 32
	s_mov_b32 s10, s8
	s_mov_b32 s11, s8
	;; [unrolled: 1-line block ×3, first 2 shown]
	v_mov_b64_e32 v[14:15], s[10:11]
	v_add_nc_u64_e32 v[8:9], v[8:9], v[4:5]
	v_mov_b64_e32 v[12:13], s[8:9]
	v_dual_mov_b32 v4, v1 :: v_dual_mov_b32 v5, v1
	s_delay_alu instid0(VALU_DEP_3) | instskip(NEXT) | instid1(VALU_DEP_4)
	v_readfirstlane_b32 s6, v8
	v_readfirstlane_b32 s7, v9
	s_clause 0x3
	global_store_b128 v0, v[2:5], s[6:7]
	global_store_b128 v0, v[12:15], s[6:7] offset:16
	global_store_b128 v0, v[12:15], s[6:7] offset:32
	;; [unrolled: 1-line block ×3, first 2 shown]
	s_wait_xcnt 0x0
	s_and_saveexec_b32 s1, s0
	s_cbranch_execz .LBB5_131
; %bb.124:
	v_dual_mov_b32 v12, 0 :: v_dual_mov_b32 v15, s5
	s_mov_b32 s6, exec_lo
	s_clause 0x1
	global_load_b64 v[16:17], v12, s[2:3] offset:32 scope:SCOPE_SYS
	global_load_b64 v[2:3], v12, s[2:3] offset:40
	s_wait_loadcnt 0x0
	v_dual_mov_b32 v14, s4 :: v_dual_bitop2_b32 v3, s5, v3 bitop3:0x40
	v_and_b32_e32 v2, s4, v2
	s_delay_alu instid0(VALU_DEP_1) | instskip(NEXT) | instid1(VALU_DEP_1)
	v_mul_u64_e32 v[2:3], 24, v[2:3]
	v_add_nc_u64_e32 v[6:7], v[6:7], v[2:3]
	global_store_b64 v[6:7], v[16:17], off
	global_wb scope:SCOPE_SYS
	s_wait_storecnt 0x0
	s_wait_xcnt 0x0
	global_atomic_cmpswap_b64 v[4:5], v12, v[14:17], s[2:3] offset:32 th:TH_ATOMIC_RETURN scope:SCOPE_SYS
	s_wait_loadcnt 0x0
	v_cmpx_ne_u64_e64 v[4:5], v[16:17]
	s_cbranch_execz .LBB5_127
; %bb.125:
	s_mov_b32 s7, 0
.LBB5_126:                              ; =>This Inner Loop Header: Depth=1
	v_dual_mov_b32 v2, s4 :: v_dual_mov_b32 v3, s5
	s_sleep 1
	global_store_b64 v[6:7], v[4:5], off
	global_wb scope:SCOPE_SYS
	s_wait_storecnt 0x0
	s_wait_xcnt 0x0
	global_atomic_cmpswap_b64 v[2:3], v12, v[2:5], s[2:3] offset:32 th:TH_ATOMIC_RETURN scope:SCOPE_SYS
	s_wait_loadcnt 0x0
	v_cmp_eq_u64_e32 vcc_lo, v[2:3], v[4:5]
	v_mov_b64_e32 v[4:5], v[2:3]
	s_or_b32 s7, vcc_lo, s7
	s_delay_alu instid0(SALU_CYCLE_1)
	s_and_not1_b32 exec_lo, exec_lo, s7
	s_cbranch_execnz .LBB5_126
.LBB5_127:
	s_or_b32 exec_lo, exec_lo, s6
	v_mov_b32_e32 v5, 0
	s_mov_b32 s7, exec_lo
	s_mov_b32 s6, exec_lo
	v_mbcnt_lo_u32_b32 v4, s7, 0
	global_load_b64 v[2:3], v5, s[2:3] offset:16
	s_wait_xcnt 0x0
	v_cmpx_eq_u32_e32 0, v4
	s_cbranch_execz .LBB5_129
; %bb.128:
	s_bcnt1_i32_b32 s7, s7
	s_delay_alu instid0(SALU_CYCLE_1)
	v_mov_b32_e32 v4, s7
	global_wb scope:SCOPE_SYS
	s_wait_loadcnt 0x0
	s_wait_storecnt 0x0
	global_atomic_add_u64 v[2:3], v[4:5], off offset:8 scope:SCOPE_SYS
.LBB5_129:
	s_wait_xcnt 0x0
	s_or_b32 exec_lo, exec_lo, s6
	s_wait_loadcnt 0x0
	global_load_b64 v[4:5], v[2:3], off offset:16
	s_wait_loadcnt 0x0
	v_cmp_eq_u64_e32 vcc_lo, 0, v[4:5]
	s_cbranch_vccnz .LBB5_131
; %bb.130:
	global_load_b32 v2, v[2:3], off offset:24
	s_wait_xcnt 0x0
	v_mov_b32_e32 v3, 0
	s_wait_loadcnt 0x0
	v_readfirstlane_b32 s6, v2
	global_wb scope:SCOPE_SYS
	s_wait_storecnt 0x0
	global_store_b64 v[4:5], v[2:3], off scope:SCOPE_SYS
	s_and_b32 m0, s6, 0xffffff
	s_sendmsg sendmsg(MSG_INTERRUPT)
.LBB5_131:
	s_wait_xcnt 0x0
	s_or_b32 exec_lo, exec_lo, s1
	v_add_nc_u64_e32 v[2:3], v[8:9], v[0:1]
	s_branch .LBB5_135
.LBB5_132:                              ;   in Loop: Header=BB5_135 Depth=1
	s_wait_xcnt 0x0
	s_or_b32 exec_lo, exec_lo, s1
	s_delay_alu instid0(VALU_DEP_1)
	v_readfirstlane_b32 s1, v1
	s_cmp_eq_u32 s1, 0
	s_cbranch_scc1 .LBB5_134
; %bb.133:                              ;   in Loop: Header=BB5_135 Depth=1
	s_sleep 1
	s_cbranch_execnz .LBB5_135
	s_branch .LBB5_137
.LBB5_134:
	s_branch .LBB5_137
.LBB5_135:                              ; =>This Inner Loop Header: Depth=1
	v_mov_b32_e32 v1, 1
	s_and_saveexec_b32 s1, s0
	s_cbranch_execz .LBB5_132
; %bb.136:                              ;   in Loop: Header=BB5_135 Depth=1
	global_load_b32 v1, v[10:11], off offset:20 scope:SCOPE_SYS
	s_wait_loadcnt 0x0
	global_inv scope:SCOPE_SYS
	v_and_b32_e32 v1, 1, v1
	s_branch .LBB5_132
.LBB5_137:
	global_load_b64 v[4:5], v[2:3], off
	s_wait_xcnt 0x0
	s_and_saveexec_b32 s6, s0
	s_cbranch_execz .LBB5_141
; %bb.138:
	v_mov_b32_e32 v1, 0
	s_clause 0x2
	global_load_b64 v[2:3], v1, s[2:3] offset:40
	global_load_b64 v[10:11], v1, s[2:3] offset:24 scope:SCOPE_SYS
	global_load_b64 v[6:7], v1, s[2:3]
	s_wait_loadcnt 0x2
	v_readfirstlane_b32 s8, v2
	v_readfirstlane_b32 s9, v3
	s_add_nc_u64 s[0:1], s[8:9], 1
	s_delay_alu instid0(SALU_CYCLE_1) | instskip(NEXT) | instid1(SALU_CYCLE_1)
	s_add_nc_u64 s[4:5], s[0:1], s[4:5]
	s_cmp_eq_u64 s[4:5], 0
	s_cselect_b32 s1, s1, s5
	s_cselect_b32 s0, s0, s4
	v_mov_b32_e32 v9, s1
	s_and_b64 s[4:5], s[0:1], s[8:9]
	v_mov_b32_e32 v8, s0
	s_mul_u64 s[4:5], s[4:5], 24
	s_wait_loadcnt 0x0
	v_add_nc_u64_e32 v[2:3], s[4:5], v[6:7]
	global_store_b64 v[2:3], v[10:11], off
	global_wb scope:SCOPE_SYS
	s_wait_storecnt 0x0
	s_wait_xcnt 0x0
	global_atomic_cmpswap_b64 v[8:9], v1, v[8:11], s[2:3] offset:24 th:TH_ATOMIC_RETURN scope:SCOPE_SYS
	s_wait_loadcnt 0x0
	v_cmp_ne_u64_e32 vcc_lo, v[8:9], v[10:11]
	s_and_b32 exec_lo, exec_lo, vcc_lo
	s_cbranch_execz .LBB5_141
; %bb.139:
	s_mov_b32 s4, 0
.LBB5_140:                              ; =>This Inner Loop Header: Depth=1
	v_dual_mov_b32 v6, s0 :: v_dual_mov_b32 v7, s1
	s_sleep 1
	global_store_b64 v[2:3], v[8:9], off
	global_wb scope:SCOPE_SYS
	s_wait_storecnt 0x0
	s_wait_xcnt 0x0
	global_atomic_cmpswap_b64 v[6:7], v1, v[6:9], s[2:3] offset:24 th:TH_ATOMIC_RETURN scope:SCOPE_SYS
	s_wait_loadcnt 0x0
	v_cmp_eq_u64_e32 vcc_lo, v[6:7], v[8:9]
	v_mov_b64_e32 v[8:9], v[6:7]
	s_or_b32 s4, vcc_lo, s4
	s_delay_alu instid0(SALU_CYCLE_1)
	s_and_not1_b32 exec_lo, exec_lo, s4
	s_cbranch_execnz .LBB5_140
.LBB5_141:
	s_or_b32 exec_lo, exec_lo, s6
.LBB5_142:
	v_readfirstlane_b32 s0, v34
	s_wait_loadcnt 0x0
	v_mov_b64_e32 v[2:3], 0
	s_delay_alu instid0(VALU_DEP_2)
	v_cmp_eq_u32_e64 s0, s0, v34
	s_and_saveexec_b32 s1, s0
	s_cbranch_execz .LBB5_148
; %bb.143:
	v_mov_b32_e32 v1, 0
	s_mov_b32 s4, exec_lo
	global_load_b64 v[8:9], v1, s[2:3] offset:24 scope:SCOPE_SYS
	s_wait_loadcnt 0x0
	global_inv scope:SCOPE_SYS
	s_clause 0x1
	global_load_b64 v[2:3], v1, s[2:3] offset:40
	global_load_b64 v[6:7], v1, s[2:3]
	s_wait_loadcnt 0x1
	v_and_b32_e32 v2, v2, v8
	v_and_b32_e32 v3, v3, v9
	s_delay_alu instid0(VALU_DEP_1) | instskip(SKIP_1) | instid1(VALU_DEP_1)
	v_mul_u64_e32 v[2:3], 24, v[2:3]
	s_wait_loadcnt 0x0
	v_add_nc_u64_e32 v[2:3], v[6:7], v[2:3]
	global_load_b64 v[6:7], v[2:3], off scope:SCOPE_SYS
	s_wait_xcnt 0x0
	s_wait_loadcnt 0x0
	global_atomic_cmpswap_b64 v[2:3], v1, v[6:9], s[2:3] offset:24 th:TH_ATOMIC_RETURN scope:SCOPE_SYS
	s_wait_loadcnt 0x0
	global_inv scope:SCOPE_SYS
	s_wait_xcnt 0x0
	v_cmpx_ne_u64_e64 v[2:3], v[8:9]
	s_cbranch_execz .LBB5_147
; %bb.144:
	s_mov_b32 s5, 0
.LBB5_145:                              ; =>This Inner Loop Header: Depth=1
	s_sleep 1
	s_clause 0x1
	global_load_b64 v[6:7], v1, s[2:3] offset:40
	global_load_b64 v[10:11], v1, s[2:3]
	v_mov_b64_e32 v[8:9], v[2:3]
	s_wait_loadcnt 0x1
	s_delay_alu instid0(VALU_DEP_1) | instskip(NEXT) | instid1(VALU_DEP_2)
	v_and_b32_e32 v2, v6, v8
	v_and_b32_e32 v6, v7, v9
	s_wait_loadcnt 0x0
	s_delay_alu instid0(VALU_DEP_2) | instskip(NEXT) | instid1(VALU_DEP_1)
	v_mad_nc_u64_u32 v[2:3], v2, 24, v[10:11]
	v_mad_u32 v3, v6, 24, v3
	global_load_b64 v[6:7], v[2:3], off scope:SCOPE_SYS
	s_wait_xcnt 0x0
	s_wait_loadcnt 0x0
	global_atomic_cmpswap_b64 v[2:3], v1, v[6:9], s[2:3] offset:24 th:TH_ATOMIC_RETURN scope:SCOPE_SYS
	s_wait_loadcnt 0x0
	global_inv scope:SCOPE_SYS
	v_cmp_eq_u64_e32 vcc_lo, v[2:3], v[8:9]
	s_or_b32 s5, vcc_lo, s5
	s_wait_xcnt 0x0
	s_and_not1_b32 exec_lo, exec_lo, s5
	s_cbranch_execnz .LBB5_145
; %bb.146:
	s_or_b32 exec_lo, exec_lo, s5
.LBB5_147:
	s_delay_alu instid0(SALU_CYCLE_1)
	s_or_b32 exec_lo, exec_lo, s4
.LBB5_148:
	s_delay_alu instid0(SALU_CYCLE_1)
	s_or_b32 exec_lo, exec_lo, s1
	v_readfirstlane_b32 s4, v2
	v_mov_b32_e32 v7, 0
	v_readfirstlane_b32 s5, v3
	s_mov_b32 s1, exec_lo
	s_clause 0x1
	global_load_b64 v[12:13], v7, s[2:3] offset:40
	global_load_b128 v[8:11], v7, s[2:3]
	s_wait_loadcnt 0x1
	v_and_b32_e32 v2, s4, v12
	v_and_b32_e32 v3, s5, v13
	s_delay_alu instid0(VALU_DEP_1) | instskip(SKIP_1) | instid1(VALU_DEP_1)
	v_mul_u64_e32 v[12:13], 24, v[2:3]
	s_wait_loadcnt 0x0
	v_add_nc_u64_e32 v[12:13], v[8:9], v[12:13]
	s_wait_xcnt 0x0
	s_and_saveexec_b32 s6, s0
	s_cbranch_execz .LBB5_150
; %bb.149:
	v_mov_b32_e32 v6, s1
	v_mov_b64_e32 v[16:17], 0x100000002
	s_delay_alu instid0(VALU_DEP_2)
	v_mov_b64_e32 v[14:15], v[6:7]
	global_store_b128 v[12:13], v[14:17], off offset:8
.LBB5_150:
	s_wait_xcnt 0x0
	s_or_b32 exec_lo, exec_lo, s6
	v_lshlrev_b64_e32 v[2:3], 12, v[2:3]
	s_mov_b32 s8, 0
	v_and_or_b32 v4, 0xffffff1d, v4, 34
	s_mov_b32 s10, s8
	s_mov_b32 s11, s8
	;; [unrolled: 1-line block ×3, first 2 shown]
	v_mov_b64_e32 v[16:17], s[10:11]
	v_add_nc_u64_e32 v[2:3], v[10:11], v[2:3]
	v_mov_b64_e32 v[14:15], s[8:9]
	v_mov_b32_e32 v6, v29
	s_delay_alu instid0(VALU_DEP_3) | instskip(NEXT) | instid1(VALU_DEP_4)
	v_readfirstlane_b32 s6, v2
	v_readfirstlane_b32 s7, v3
	s_clause 0x3
	global_store_b128 v0, v[4:7], s[6:7]
	global_store_b128 v0, v[14:17], s[6:7] offset:16
	global_store_b128 v0, v[14:17], s[6:7] offset:32
	;; [unrolled: 1-line block ×3, first 2 shown]
	s_wait_xcnt 0x0
	s_and_saveexec_b32 s1, s0
	s_cbranch_execz .LBB5_158
; %bb.151:
	v_mov_b32_e32 v6, 0
	s_mov_b32 s6, exec_lo
	s_clause 0x1
	global_load_b64 v[10:11], v6, s[2:3] offset:32 scope:SCOPE_SYS
	global_load_b64 v[0:1], v6, s[2:3] offset:40
	s_wait_loadcnt 0x0
	v_and_b32_e32 v0, s4, v0
	v_and_b32_e32 v1, s5, v1
	s_delay_alu instid0(VALU_DEP_1) | instskip(NEXT) | instid1(VALU_DEP_1)
	v_mul_u64_e32 v[0:1], 24, v[0:1]
	v_add_nc_u64_e32 v[4:5], v[8:9], v[0:1]
	v_dual_mov_b32 v8, s4 :: v_dual_mov_b32 v9, s5
	global_store_b64 v[4:5], v[10:11], off
	global_wb scope:SCOPE_SYS
	s_wait_storecnt 0x0
	s_wait_xcnt 0x0
	global_atomic_cmpswap_b64 v[2:3], v6, v[8:11], s[2:3] offset:32 th:TH_ATOMIC_RETURN scope:SCOPE_SYS
	s_wait_loadcnt 0x0
	v_cmpx_ne_u64_e64 v[2:3], v[10:11]
	s_cbranch_execz .LBB5_154
; %bb.152:
	s_mov_b32 s7, 0
.LBB5_153:                              ; =>This Inner Loop Header: Depth=1
	v_dual_mov_b32 v0, s4 :: v_dual_mov_b32 v1, s5
	s_sleep 1
	global_store_b64 v[4:5], v[2:3], off
	global_wb scope:SCOPE_SYS
	s_wait_storecnt 0x0
	s_wait_xcnt 0x0
	global_atomic_cmpswap_b64 v[0:1], v6, v[0:3], s[2:3] offset:32 th:TH_ATOMIC_RETURN scope:SCOPE_SYS
	s_wait_loadcnt 0x0
	v_cmp_eq_u64_e32 vcc_lo, v[0:1], v[2:3]
	v_mov_b64_e32 v[2:3], v[0:1]
	s_or_b32 s7, vcc_lo, s7
	s_delay_alu instid0(SALU_CYCLE_1)
	s_and_not1_b32 exec_lo, exec_lo, s7
	s_cbranch_execnz .LBB5_153
.LBB5_154:
	s_or_b32 exec_lo, exec_lo, s6
	v_mov_b32_e32 v3, 0
	s_mov_b32 s7, exec_lo
	s_mov_b32 s6, exec_lo
	v_mbcnt_lo_u32_b32 v2, s7, 0
	global_load_b64 v[0:1], v3, s[2:3] offset:16
	s_wait_xcnt 0x0
	v_cmpx_eq_u32_e32 0, v2
	s_cbranch_execz .LBB5_156
; %bb.155:
	s_bcnt1_i32_b32 s7, s7
	s_delay_alu instid0(SALU_CYCLE_1)
	v_mov_b32_e32 v2, s7
	global_wb scope:SCOPE_SYS
	s_wait_loadcnt 0x0
	s_wait_storecnt 0x0
	global_atomic_add_u64 v[0:1], v[2:3], off offset:8 scope:SCOPE_SYS
.LBB5_156:
	s_wait_xcnt 0x0
	s_or_b32 exec_lo, exec_lo, s6
	s_wait_loadcnt 0x0
	global_load_b64 v[2:3], v[0:1], off offset:16
	s_wait_loadcnt 0x0
	v_cmp_eq_u64_e32 vcc_lo, 0, v[2:3]
	s_cbranch_vccnz .LBB5_158
; %bb.157:
	global_load_b32 v0, v[0:1], off offset:24
	s_wait_xcnt 0x0
	v_mov_b32_e32 v1, 0
	s_wait_loadcnt 0x0
	v_readfirstlane_b32 s6, v0
	global_wb scope:SCOPE_SYS
	s_wait_storecnt 0x0
	global_store_b64 v[2:3], v[0:1], off scope:SCOPE_SYS
	s_and_b32 m0, s6, 0xffffff
	s_sendmsg sendmsg(MSG_INTERRUPT)
.LBB5_158:
	s_wait_xcnt 0x0
	s_or_b32 exec_lo, exec_lo, s1
	s_branch .LBB5_162
.LBB5_159:                              ;   in Loop: Header=BB5_162 Depth=1
	s_wait_xcnt 0x0
	s_or_b32 exec_lo, exec_lo, s1
	s_delay_alu instid0(VALU_DEP_1)
	v_readfirstlane_b32 s1, v0
	s_cmp_eq_u32 s1, 0
	s_cbranch_scc1 .LBB5_161
; %bb.160:                              ;   in Loop: Header=BB5_162 Depth=1
	s_sleep 1
	s_cbranch_execnz .LBB5_162
	s_branch .LBB5_164
.LBB5_161:
	s_branch .LBB5_164
.LBB5_162:                              ; =>This Inner Loop Header: Depth=1
	v_mov_b32_e32 v0, 1
	s_and_saveexec_b32 s1, s0
	s_cbranch_execz .LBB5_159
; %bb.163:                              ;   in Loop: Header=BB5_162 Depth=1
	global_load_b32 v0, v[12:13], off offset:20 scope:SCOPE_SYS
	s_wait_loadcnt 0x0
	global_inv scope:SCOPE_SYS
	v_and_b32_e32 v0, 1, v0
	s_branch .LBB5_159
.LBB5_164:
	s_and_saveexec_b32 s1, s0
	s_cbranch_execz .LBB5_168
; %bb.165:
	v_mov_b32_e32 v6, 0
	s_clause 0x2
	global_load_b64 v[0:1], v6, s[2:3] offset:40
	global_load_b64 v[10:11], v6, s[2:3] offset:24 scope:SCOPE_SYS
	global_load_b64 v[2:3], v6, s[2:3]
	s_wait_loadcnt 0x2
	v_readfirstlane_b32 s6, v0
	v_readfirstlane_b32 s7, v1
	s_add_nc_u64 s[0:1], s[6:7], 1
	s_delay_alu instid0(SALU_CYCLE_1) | instskip(NEXT) | instid1(SALU_CYCLE_1)
	s_add_nc_u64 s[4:5], s[0:1], s[4:5]
	s_cmp_eq_u64 s[4:5], 0
	s_cselect_b32 s1, s1, s5
	s_cselect_b32 s0, s0, s4
	v_mov_b32_e32 v9, s1
	s_and_b64 s[4:5], s[0:1], s[6:7]
	v_mov_b32_e32 v8, s0
	s_mul_u64 s[4:5], s[4:5], 24
	s_wait_loadcnt 0x0
	v_add_nc_u64_e32 v[4:5], s[4:5], v[2:3]
	global_store_b64 v[4:5], v[10:11], off
	global_wb scope:SCOPE_SYS
	s_wait_storecnt 0x0
	s_wait_xcnt 0x0
	global_atomic_cmpswap_b64 v[2:3], v6, v[8:11], s[2:3] offset:24 th:TH_ATOMIC_RETURN scope:SCOPE_SYS
	s_wait_loadcnt 0x0
	v_cmp_ne_u64_e32 vcc_lo, v[2:3], v[10:11]
	s_and_b32 exec_lo, exec_lo, vcc_lo
	s_cbranch_execz .LBB5_168
; %bb.166:
	s_mov_b32 s4, 0
.LBB5_167:                              ; =>This Inner Loop Header: Depth=1
	v_dual_mov_b32 v0, s0 :: v_dual_mov_b32 v1, s1
	s_sleep 1
	global_store_b64 v[4:5], v[2:3], off
	global_wb scope:SCOPE_SYS
	s_wait_storecnt 0x0
	s_wait_xcnt 0x0
	global_atomic_cmpswap_b64 v[0:1], v6, v[0:3], s[2:3] offset:24 th:TH_ATOMIC_RETURN scope:SCOPE_SYS
	s_wait_loadcnt 0x0
	v_cmp_eq_u64_e32 vcc_lo, v[0:1], v[2:3]
	v_mov_b64_e32 v[2:3], v[0:1]
	s_or_b32 s4, vcc_lo, s4
	s_delay_alu instid0(SALU_CYCLE_1)
	s_and_not1_b32 exec_lo, exec_lo, s4
	s_cbranch_execnz .LBB5_167
.LBB5_168:
	s_endpgm
.LBB5_169:
	v_dual_mov_b32 v0, s16 :: v_dual_mov_b32 v1, s17
	s_get_pc_i64 s[0:1]
	s_add_nc_u64 s[0:1], s[0:1], __ockl_dm_dealloc@rel64+4
	s_delay_alu instid0(SALU_CYCLE_1)
	s_swap_pc_i64 s[30:31], s[0:1]
	s_cbranch_execnz .LBB5_7
.LBB5_170:
	v_dual_mov_b32 v0, s16 :: v_dual_mov_b32 v1, s17
	s_get_pc_i64 s[0:1]
	s_add_nc_u64 s[0:1], s[0:1], __ockl_dm_dealloc@rel64+4
	s_delay_alu instid0(SALU_CYCLE_1)
	s_swap_pc_i64 s[30:31], s[0:1]
	s_branch .LBB5_7
	.section	.rodata,"a",@progbits
	.p2align	6, 0x0
	.amdhsa_kernel _ZL7kerFreePii
		.amdhsa_group_segment_fixed_size 0
		.amdhsa_private_segment_fixed_size 0
		.amdhsa_kernarg_size 272
		.amdhsa_user_sgpr_count 2
		.amdhsa_user_sgpr_dispatch_ptr 0
		.amdhsa_user_sgpr_queue_ptr 0
		.amdhsa_user_sgpr_kernarg_segment_ptr 1
		.amdhsa_user_sgpr_dispatch_id 0
		.amdhsa_user_sgpr_kernarg_preload_length 0
		.amdhsa_user_sgpr_kernarg_preload_offset 0
		.amdhsa_user_sgpr_private_segment_size 0
		.amdhsa_wavefront_size32 1
		.amdhsa_uses_dynamic_stack 0
		.amdhsa_enable_private_segment 0
		.amdhsa_system_sgpr_workgroup_id_x 1
		.amdhsa_system_sgpr_workgroup_id_y 0
		.amdhsa_system_sgpr_workgroup_id_z 0
		.amdhsa_system_sgpr_workgroup_info 0
		.amdhsa_system_vgpr_workitem_id 0
		.amdhsa_next_free_vgpr 35
		.amdhsa_next_free_sgpr 33
		.amdhsa_named_barrier_count 0
		.amdhsa_reserve_vcc 1
		.amdhsa_float_round_mode_32 0
		.amdhsa_float_round_mode_16_64 0
		.amdhsa_float_denorm_mode_32 3
		.amdhsa_float_denorm_mode_16_64 3
		.amdhsa_fp16_overflow 0
		.amdhsa_memory_ordered 1
		.amdhsa_forward_progress 1
		.amdhsa_inst_pref_size 56
		.amdhsa_round_robin_scheduling 0
		.amdhsa_exception_fp_ieee_invalid_op 0
		.amdhsa_exception_fp_denorm_src 0
		.amdhsa_exception_fp_ieee_div_zero 0
		.amdhsa_exception_fp_ieee_overflow 0
		.amdhsa_exception_fp_ieee_underflow 0
		.amdhsa_exception_fp_ieee_inexact 0
		.amdhsa_exception_int_div_zero 0
	.end_amdhsa_kernel
	.section	.text._ZL7kerFreePii,"axG",@progbits,_ZL7kerFreePii,comdat
.Lfunc_end5:
	.size	_ZL7kerFreePii, .Lfunc_end5-_ZL7kerFreePii
                                        ; -- End function
	.set _ZL7kerFreePii.num_vgpr, max(35, .L__ockl_dm_dealloc.num_vgpr)
	.set _ZL7kerFreePii.num_agpr, max(0, .L__ockl_dm_dealloc.num_agpr)
	.set _ZL7kerFreePii.numbered_sgpr, max(33, .L__ockl_dm_dealloc.numbered_sgpr)
	.set _ZL7kerFreePii.num_named_barrier, max(0, .L__ockl_dm_dealloc.num_named_barrier)
	.set _ZL7kerFreePii.private_seg_size, 0+max(.L__ockl_dm_dealloc.private_seg_size)
	.set _ZL7kerFreePii.uses_vcc, or(1, .L__ockl_dm_dealloc.uses_vcc)
	.set _ZL7kerFreePii.uses_flat_scratch, or(0, .L__ockl_dm_dealloc.uses_flat_scratch)
	.set _ZL7kerFreePii.has_dyn_sized_stack, or(0, .L__ockl_dm_dealloc.has_dyn_sized_stack)
	.set _ZL7kerFreePii.has_recursion, or(0, .L__ockl_dm_dealloc.has_recursion)
	.set _ZL7kerFreePii.has_indirect_call, or(0, .L__ockl_dm_dealloc.has_indirect_call)
	.section	.AMDGPU.csdata,"",@progbits
; Kernel info:
; codeLenInByte = 7108
; TotalNumSgprs: 35
; NumVgprs: 35
; ScratchSize: 0
; MemoryBound: 0
; FloatMode: 240
; IeeeMode: 1
; LDSByteSize: 0 bytes/workgroup (compile time only)
; SGPRBlocks: 0
; VGPRBlocks: 2
; NumSGPRsForWavesPerEU: 35
; NumVGPRsForWavesPerEU: 35
; NamedBarCnt: 0
; Occupancy: 16
; WaveLimiterHint : 1
; COMPUTE_PGM_RSRC2:SCRATCH_EN: 0
; COMPUTE_PGM_RSRC2:USER_SGPR: 2
; COMPUTE_PGM_RSRC2:TRAP_HANDLER: 0
; COMPUTE_PGM_RSRC2:TGID_X_EN: 1
; COMPUTE_PGM_RSRC2:TGID_Y_EN: 0
; COMPUTE_PGM_RSRC2:TGID_Z_EN: 0
; COMPUTE_PGM_RSRC2:TIDIG_COMP_CNT: 0
	.text
	.p2alignl 7, 3214868480
	.fill 96, 4, 3214868480
	.section	.AMDGPU.gpr_maximums,"",@progbits
	.set amdgpu.max_num_vgpr, 100
	.set amdgpu.max_num_agpr, 0
	.set amdgpu.max_num_sgpr, 62
	.text
	.type	_ZL7dev_mem,@object             ; @_ZL7dev_mem
	.local	_ZL7dev_mem
	.comm	_ZL7dev_mem,4096,4
	.type	.str,@object                    ; @.str
	.section	.rodata.str1.1,"aMS",@progbits,1
.str:
	.asciz	"Device Allocation Failed in thread = %d \n"
	.size	.str, 42

	.type	_ZL14dev_common_ptr,@object     ; @_ZL14dev_common_ptr
	.local	_ZL14dev_common_ptr
	.comm	_ZL14dev_common_ptr,8,3
	.type	__hip_cuid_f465ce5cc818b572,@object ; @__hip_cuid_f465ce5cc818b572
	.section	.bss,"aw",@nobits
	.globl	__hip_cuid_f465ce5cc818b572
__hip_cuid_f465ce5cc818b572:
	.byte	0                               ; 0x0
	.size	__hip_cuid_f465ce5cc818b572, 1

	.type	kinfo,@object                   ; @kinfo
	.section	.rodata,"a",@progbits
	.p2align	2, 0x0
kinfo:
	.long	130054                          ; 0x1fc06
	.long	129546                          ; 0x1fa0a
	;; [unrolled: 1-line block ×3, first 2 shown]
	.long	16288                           ; 0x3fa0
	.long	6                               ; 0x6
	.long	256                             ; 0x100
	.long	0                               ; 0x0
	.long	86927                           ; 0x1538f
	.long	86758                           ; 0x152e6
	;; [unrolled: 1-line block ×4, first 2 shown]
	.long	399                             ; 0x18f
	.long	512                             ; 0x200
	.long	0                               ; 0x0
	.long	65280                           ; 0xff00
	.long	64770                           ; 0xfd02
	;; [unrolled: 1-line block ×3, first 2 shown]
	.long	8192                            ; 0x2000
	.long	0                               ; 0x0
	.long	128                             ; 0x80
	.long	0                               ; 0x0
	.long	43576                           ; 0xaa38
	.long	43406                           ; 0xa98e
	.long	36895                           ; 0x901f
	.long	5504                            ; 0x1580
	.long	56                              ; 0x38
	.long	256                             ; 0x100
	.long	0                               ; 0x0
	.long	32703                           ; 0x7fbf
	.long	32193                           ; 0x7dc1
	;; [unrolled: 1-line block ×3, first 2 shown]
	.long	4160                            ; 0x1040
	.long	63                              ; 0x3f
	.long	64                              ; 0x40
	.long	0                               ; 0x0
	.long	21816                           ; 0x5538
	.long	21646                           ; 0x548e
	.long	18399                           ; 0x47df
	.long	2816                            ; 0xb00
	.long	56                              ; 0x38
	.long	128                             ; 0x80
	.long	0                               ; 0x0
	.long	16367                           ; 0x3fef
	.long	15856                           ; 0x3df0
	;; [unrolled: 1-line block ×3, first 2 shown]
	.long	2176                            ; 0x880
	.long	15                              ; 0xf
	.long	32                              ; 0x20
	.long	32768                           ; 0x8000
	.long	10915                           ; 0x2aa3
	;; [unrolled: 1-line block ×3, first 2 shown]
	.long	9133                            ; 0x23ad
	.long	1472                            ; 0x5c0
	.long	35                              ; 0x23
	.long	64                              ; 0x40
	.long	0                               ; 0x0
	.long	8187                            ; 0x1ffb
	.long	7676                            ; 0x1dfc
	;; [unrolled: 1-line block ×4, first 2 shown]
	.long	11                              ; 0xb
	.long	16                              ; 0x10
	.long	134219776                       ; 0x8000800
	.long	5459                            ; 0x1553
	.long	5289                            ; 0x14a9
	;; [unrolled: 1-line block ×3, first 2 shown]
	.long	896                             ; 0x380
	.long	19                              ; 0x13
	.long	32                              ; 0x20
	.long	524288                          ; 0x80000
	.long	4094                            ; 0xffe
	.long	3583                            ; 0xdff
	;; [unrolled: 1-line block ×4, first 2 shown]
	.long	6                               ; 0x6
	.long	8                               ; 0x8
	.long	1077952576                      ; 0x40404040
	.long	2730                            ; 0xaaa
	.long	2560                            ; 0xa00
	;; [unrolled: 1-line block ×3, first 2 shown]
	.long	512                             ; 0x200
	.long	10                              ; 0xa
	.long	16                              ; 0x10
	.long	67109888                        ; 0x4000400
	.long	2047                            ; 0x7ff
	.long	1536                            ; 0x600
	;; [unrolled: 1-line block ×4, first 2 shown]
	.long	3                               ; 0x3
	.long	4                               ; 0x4
	.long	2290649224                      ; 0x88888888
	.long	1365                            ; 0x555
	.long	1195                            ; 0x4ab
	;; [unrolled: 1-line block ×3, first 2 shown]
	.long	512                             ; 0x200
	.long	5                               ; 0x5
	.long	8                               ; 0x8
	.long	538976288                       ; 0x20202020
	.long	1023                            ; 0x3ff
	.long	512                             ; 0x200
	.long	435                             ; 0x1b3
	.long	2048                            ; 0x800
	.long	1                               ; 0x1
	.long	2                               ; 0x2
	.long	2863311530                      ; 0xaaaaaaaa
	.long	682                             ; 0x2aa
	.long	512                             ; 0x200
	;; [unrolled: 1-line block ×3, first 2 shown]
	.long	2048                            ; 0x800
	.long	2                               ; 0x2
	.long	4                               ; 0x4
	.long	1145324612                      ; 0x44444444
	.size	kinfo, 448

	.ident	"AMD clang version 22.0.0git (https://github.com/RadeonOpenCompute/llvm-project roc-7.2.4 26084 f58b06dce1f9c15707c5f808fd002e18c2accf7e)"
	.section	".note.GNU-stack","",@progbits
	.addrsig
	.addrsig_sym __hip_cuid_f465ce5cc818b572
	.amdgpu_metadata
---
amdhsa.kernels:
  - .args:
      - .address_space:  global
        .offset:         0
        .size:           8
        .value_kind:     global_buffer
      - .offset:         8
        .size:           4
        .value_kind:     by_value
      - .offset:         16
        .size:           4
        .value_kind:     hidden_block_count_x
      - .offset:         20
        .size:           4
        .value_kind:     hidden_block_count_y
      - .offset:         24
        .size:           4
        .value_kind:     hidden_block_count_z
      - .offset:         28
        .size:           2
        .value_kind:     hidden_group_size_x
      - .offset:         30
        .size:           2
        .value_kind:     hidden_group_size_y
      - .offset:         32
        .size:           2
        .value_kind:     hidden_group_size_z
      - .offset:         34
        .size:           2
        .value_kind:     hidden_remainder_x
      - .offset:         36
        .size:           2
        .value_kind:     hidden_remainder_y
      - .offset:         38
        .size:           2
        .value_kind:     hidden_remainder_z
      - .offset:         56
        .size:           8
        .value_kind:     hidden_global_offset_x
      - .offset:         64
        .size:           8
        .value_kind:     hidden_global_offset_y
      - .offset:         72
        .size:           8
        .value_kind:     hidden_global_offset_z
      - .offset:         80
        .size:           2
        .value_kind:     hidden_grid_dims
      - .offset:         96
        .size:           8
        .value_kind:     hidden_hostcall_buffer
      - .offset:         112
        .size:           8
        .value_kind:     hidden_heap_v1
    .group_segment_fixed_size: 0
    .kernarg_segment_align: 8
    .kernarg_segment_size: 272
    .language:       OpenCL C
    .language_version:
      - 2
      - 0
    .max_flat_workgroup_size: 1024
    .name:           _ZL29kerBlockLevelMemoryAllocationPii
    .private_segment_fixed_size: 0
    .sgpr_count:     64
    .sgpr_spill_count: 0
    .symbol:         _ZL29kerBlockLevelMemoryAllocationPii.kd
    .uniform_work_group_size: 1
    .uses_dynamic_stack: false
    .vgpr_count:     100
    .vgpr_spill_count: 0
    .wavefront_size: 32
  - .args:
      - .offset:         0
        .size:           4
        .value_kind:     by_value
      - .offset:         8
        .size:           4
        .value_kind:     hidden_block_count_x
      - .offset:         12
        .size:           4
        .value_kind:     hidden_block_count_y
      - .offset:         16
        .size:           4
        .value_kind:     hidden_block_count_z
      - .offset:         20
        .size:           2
        .value_kind:     hidden_group_size_x
      - .offset:         22
        .size:           2
        .value_kind:     hidden_group_size_y
      - .offset:         24
        .size:           2
        .value_kind:     hidden_group_size_z
      - .offset:         26
        .size:           2
        .value_kind:     hidden_remainder_x
      - .offset:         28
        .size:           2
        .value_kind:     hidden_remainder_y
      - .offset:         30
        .size:           2
        .value_kind:     hidden_remainder_z
      - .offset:         48
        .size:           8
        .value_kind:     hidden_global_offset_x
      - .offset:         56
        .size:           8
        .value_kind:     hidden_global_offset_y
      - .offset:         64
        .size:           8
        .value_kind:     hidden_global_offset_z
      - .offset:         72
        .size:           2
        .value_kind:     hidden_grid_dims
      - .offset:         88
        .size:           8
        .value_kind:     hidden_hostcall_buffer
      - .offset:         104
        .size:           8
        .value_kind:     hidden_heap_v1
    .group_segment_fixed_size: 0
    .kernarg_segment_align: 8
    .kernarg_segment_size: 264
    .language:       OpenCL C
    .language_version:
      - 2
      - 0
    .max_flat_workgroup_size: 1024
    .name:           _ZL8kerAlloci
    .private_segment_fixed_size: 0
    .sgpr_count:     64
    .sgpr_spill_count: 0
    .symbol:         _ZL8kerAlloci.kd
    .uniform_work_group_size: 1
    .uses_dynamic_stack: false
    .vgpr_count:     100
    .vgpr_spill_count: 0
    .wavefront_size: 32
  - .args:
      - .offset:         0
        .size:           4
        .value_kind:     hidden_block_count_x
      - .offset:         4
        .size:           4
        .value_kind:     hidden_block_count_y
      - .offset:         8
        .size:           4
        .value_kind:     hidden_block_count_z
      - .offset:         12
        .size:           2
        .value_kind:     hidden_group_size_x
      - .offset:         14
        .size:           2
        .value_kind:     hidden_group_size_y
      - .offset:         16
        .size:           2
        .value_kind:     hidden_group_size_z
      - .offset:         18
        .size:           2
        .value_kind:     hidden_remainder_x
      - .offset:         20
        .size:           2
        .value_kind:     hidden_remainder_y
      - .offset:         22
        .size:           2
        .value_kind:     hidden_remainder_z
      - .offset:         40
        .size:           8
        .value_kind:     hidden_global_offset_x
      - .offset:         48
        .size:           8
        .value_kind:     hidden_global_offset_y
      - .offset:         56
        .size:           8
        .value_kind:     hidden_global_offset_z
      - .offset:         64
        .size:           2
        .value_kind:     hidden_grid_dims
      - .offset:         80
        .size:           8
        .value_kind:     hidden_hostcall_buffer
    .group_segment_fixed_size: 0
    .kernarg_segment_align: 8
    .kernarg_segment_size: 256
    .language:       OpenCL C
    .language_version:
      - 2
      - 0
    .max_flat_workgroup_size: 1024
    .name:           _ZL8kerWritev
    .private_segment_fixed_size: 0
    .sgpr_count:     20
    .sgpr_spill_count: 0
    .symbol:         _ZL8kerWritev.kd
    .uniform_work_group_size: 1
    .uses_dynamic_stack: false
    .vgpr_count:     35
    .vgpr_spill_count: 0
    .wavefront_size: 32
  - .args:
      - .address_space:  global
        .offset:         0
        .size:           8
        .value_kind:     global_buffer
      - .offset:         8
        .size:           4
        .value_kind:     by_value
      - .offset:         16
        .size:           4
        .value_kind:     hidden_block_count_x
      - .offset:         20
        .size:           4
        .value_kind:     hidden_block_count_y
      - .offset:         24
        .size:           4
        .value_kind:     hidden_block_count_z
      - .offset:         28
        .size:           2
        .value_kind:     hidden_group_size_x
      - .offset:         30
        .size:           2
        .value_kind:     hidden_group_size_y
      - .offset:         32
        .size:           2
        .value_kind:     hidden_group_size_z
      - .offset:         34
        .size:           2
        .value_kind:     hidden_remainder_x
      - .offset:         36
        .size:           2
        .value_kind:     hidden_remainder_y
      - .offset:         38
        .size:           2
        .value_kind:     hidden_remainder_z
      - .offset:         56
        .size:           8
        .value_kind:     hidden_global_offset_x
      - .offset:         64
        .size:           8
        .value_kind:     hidden_global_offset_y
      - .offset:         72
        .size:           8
        .value_kind:     hidden_global_offset_z
      - .offset:         80
        .size:           2
        .value_kind:     hidden_grid_dims
      - .offset:         96
        .size:           8
        .value_kind:     hidden_hostcall_buffer
      - .offset:         112
        .size:           8
        .value_kind:     hidden_heap_v1
    .group_segment_fixed_size: 0
    .kernarg_segment_align: 8
    .kernarg_segment_size: 272
    .language:       OpenCL C
    .language_version:
      - 2
      - 0
    .max_flat_workgroup_size: 1024
    .name:           _ZL7kerFreePii
    .private_segment_fixed_size: 0
    .sgpr_count:     35
    .sgpr_spill_count: 0
    .symbol:         _ZL7kerFreePii.kd
    .uniform_work_group_size: 1
    .uses_dynamic_stack: false
    .vgpr_count:     35
    .vgpr_spill_count: 0
    .wavefront_size: 32
amdhsa.target:   amdgcn-amd-amdhsa--gfx1250
amdhsa.version:
  - 1
  - 2
...

	.end_amdgpu_metadata
